;; amdgpu-corpus repo=ROCm/rocFFT kind=compiled arch=gfx1201 opt=O3
	.text
	.amdgcn_target "amdgcn-amd-amdhsa--gfx1201"
	.amdhsa_code_object_version 6
	.protected	bluestein_single_fwd_len495_dim1_sp_op_CI_CI ; -- Begin function bluestein_single_fwd_len495_dim1_sp_op_CI_CI
	.globl	bluestein_single_fwd_len495_dim1_sp_op_CI_CI
	.p2align	8
	.type	bluestein_single_fwd_len495_dim1_sp_op_CI_CI,@function
bluestein_single_fwd_len495_dim1_sp_op_CI_CI: ; @bluestein_single_fwd_len495_dim1_sp_op_CI_CI
; %bb.0:
	s_load_b128 s[8:11], s[0:1], 0x28
	v_mul_u32_u24_e32 v1, 0x4a8, v0
	s_mov_b32 s2, exec_lo
	v_mov_b32_e32 v53, 0
	s_delay_alu instid0(VALU_DEP_2) | instskip(NEXT) | instid1(VALU_DEP_1)
	v_lshrrev_b32_e32 v1, 16, v1
	v_add_nc_u32_e32 v52, ttmp9, v1
	s_wait_kmcnt 0x0
	s_delay_alu instid0(VALU_DEP_1)
	v_cmpx_gt_u64_e64 s[8:9], v[52:53]
	s_cbranch_execz .LBB0_23
; %bb.1:
	s_clause 0x1
	s_load_b64 s[12:13], s[0:1], 0x0
	s_load_b64 s[8:9], s[0:1], 0x38
	v_mul_lo_u16 v1, v1, 55
	s_delay_alu instid0(VALU_DEP_1) | instskip(NEXT) | instid1(VALU_DEP_1)
	v_sub_nc_u16 v0, v0, v1
	v_and_b32_e32 v57, 0xffff, v0
	v_cmp_gt_u16_e32 vcc_lo, 45, v0
	s_delay_alu instid0(VALU_DEP_2)
	v_lshlrev_b32_e32 v58, 3, v57
	s_and_saveexec_b32 s3, vcc_lo
	s_cbranch_execz .LBB0_3
; %bb.2:
	s_load_b64 s[4:5], s[0:1], 0x18
	s_delay_alu instid0(VALU_DEP_1)
	v_add_nc_u32_e32 v46, 0x800, v58
	s_wait_kmcnt 0x0
	s_load_b128 s[4:7], s[4:5], 0x0
	s_wait_kmcnt 0x0
	v_mad_co_u64_u32 v[0:1], null, s6, v52, 0
	v_mad_co_u64_u32 v[2:3], null, s4, v57, 0
	s_delay_alu instid0(VALU_DEP_1) | instskip(NEXT) | instid1(VALU_DEP_1)
	v_mad_co_u64_u32 v[4:5], null, s7, v52, v[1:2]
	v_mad_co_u64_u32 v[5:6], null, s5, v57, v[3:4]
	v_mov_b32_e32 v1, v4
	s_mul_u64 s[4:5], s[4:5], 0x168
	s_delay_alu instid0(VALU_DEP_1) | instskip(NEXT) | instid1(VALU_DEP_3)
	v_lshlrev_b64_e32 v[0:1], 3, v[0:1]
	v_mov_b32_e32 v3, v5
	s_delay_alu instid0(VALU_DEP_1) | instskip(NEXT) | instid1(VALU_DEP_3)
	v_lshlrev_b64_e32 v[2:3], 3, v[2:3]
	v_add_co_u32 v10, s2, s10, v0
	s_delay_alu instid0(VALU_DEP_1)
	v_add_co_ci_u32_e64 v11, s2, s11, v1, s2
	s_clause 0x3
	global_load_b64 v[0:1], v58, s[12:13]
	global_load_b64 v[4:5], v58, s[12:13] offset:360
	global_load_b64 v[6:7], v58, s[12:13] offset:720
	;; [unrolled: 1-line block ×3, first 2 shown]
	v_add_co_u32 v2, s2, v10, v2
	s_wait_alu 0xf1ff
	v_add_co_ci_u32_e64 v3, s2, v11, v3, s2
	s_clause 0x3
	global_load_b64 v[12:13], v58, s[12:13] offset:1440
	global_load_b64 v[14:15], v58, s[12:13] offset:1800
	;; [unrolled: 1-line block ×4, first 2 shown]
	s_wait_alu 0xfffe
	v_add_co_u32 v10, s2, v2, s4
	s_wait_alu 0xf1ff
	v_add_co_ci_u32_e64 v11, s2, s5, v3, s2
	global_load_b64 v[22:23], v58, s[12:13] offset:2880
	v_add_co_u32 v20, s2, v10, s4
	s_wait_alu 0xf1ff
	v_add_co_ci_u32_e64 v21, s2, s5, v11, s2
	s_clause 0x1
	global_load_b64 v[2:3], v[2:3], off
	global_load_b64 v[10:11], v[10:11], off
	v_add_co_u32 v24, s2, v20, s4
	s_wait_alu 0xf1ff
	v_add_co_ci_u32_e64 v25, s2, s5, v21, s2
	s_delay_alu instid0(VALU_DEP_2) | instskip(SKIP_1) | instid1(VALU_DEP_2)
	v_add_co_u32 v26, s2, v24, s4
	s_wait_alu 0xf1ff
	v_add_co_ci_u32_e64 v27, s2, s5, v25, s2
	s_clause 0x1
	global_load_b64 v[20:21], v[20:21], off
	global_load_b64 v[24:25], v[24:25], off
	v_add_co_u32 v28, s2, v26, s4
	s_wait_alu 0xf1ff
	v_add_co_ci_u32_e64 v29, s2, s5, v27, s2
	global_load_b64 v[26:27], v[26:27], off
	v_add_co_u32 v30, s2, v28, s4
	s_wait_alu 0xf1ff
	v_add_co_ci_u32_e64 v31, s2, s5, v29, s2
	;; [unrolled: 4-line block ×6, first 2 shown]
	global_load_b64 v[36:37], v[36:37], off
	s_clause 0x1
	global_load_b64 v[40:41], v58, s[12:13] offset:3240
	global_load_b64 v[42:43], v58, s[12:13] offset:3600
	global_load_b64 v[38:39], v[38:39], off
	s_wait_loadcnt 0xc
	v_mul_f32_e32 v44, v3, v1
	v_mul_f32_e32 v45, v2, v1
	s_wait_loadcnt 0xb
	v_mul_f32_e32 v1, v11, v5
	s_delay_alu instid0(VALU_DEP_2) | instskip(NEXT) | instid1(VALU_DEP_2)
	v_fma_f32 v45, v3, v0, -v45
	v_fmac_f32_e32 v1, v10, v4
	v_fmac_f32_e32 v44, v2, v0
	s_wait_loadcnt 0xa
	v_dual_mul_f32 v0, v21, v7 :: v_dual_mul_f32 v5, v10, v5
	s_wait_loadcnt 0x9
	s_delay_alu instid0(VALU_DEP_1) | instskip(NEXT) | instid1(VALU_DEP_2)
	v_dual_mul_f32 v3, v25, v9 :: v_dual_fmac_f32 v0, v20, v6
	v_fma_f32 v2, v11, v4, -v5
	s_wait_loadcnt 0x8
	v_dual_mul_f32 v4, v20, v7 :: v_dual_mul_f32 v5, v27, v13
	ds_store_2addr_b64 v58, v[44:45], v[1:2] offset1:45
	s_wait_loadcnt 0x7
	v_dual_mul_f32 v2, v24, v9 :: v_dual_mul_f32 v7, v29, v15
	v_fma_f32 v1, v21, v6, -v4
	v_mul_f32_e32 v6, v26, v13
	s_wait_loadcnt 0x6
	v_mul_f32_e32 v9, v31, v17
	v_fma_f32 v4, v25, v8, -v2
	v_mul_f32_e32 v2, v28, v15
	v_fmac_f32_e32 v3, v24, v8
	v_fmac_f32_e32 v7, v28, v14
	;; [unrolled: 1-line block ×3, first 2 shown]
	v_fma_f32 v6, v27, v12, -v6
	v_fma_f32 v8, v29, v14, -v2
	s_wait_loadcnt 0x5
	v_dual_mul_f32 v2, v30, v17 :: v_dual_mul_f32 v11, v33, v19
	v_mul_f32_e32 v12, v32, v19
	s_wait_loadcnt 0x4
	v_mul_f32_e32 v13, v35, v23
	s_delay_alu instid0(VALU_DEP_3)
	v_fma_f32 v10, v31, v16, -v2
	v_mul_f32_e32 v2, v34, v23
	s_wait_loadcnt 0x2
	v_dual_fmac_f32 v9, v30, v16 :: v_dual_mul_f32 v16, v36, v41
	v_mul_f32_e32 v15, v37, v41
	v_fmac_f32_e32 v11, v32, v18
	v_fma_f32 v12, v33, v18, -v12
	s_wait_loadcnt 0x0
	v_mul_f32_e32 v18, v38, v43
	v_mul_f32_e32 v17, v39, v43
	v_fmac_f32_e32 v13, v34, v22
	v_fma_f32 v14, v35, v22, -v2
	v_fmac_f32_e32 v15, v36, v40
	v_fma_f32 v16, v37, v40, -v16
	;; [unrolled: 2-line block ×3, first 2 shown]
	ds_store_2addr_b64 v58, v[0:1], v[3:4] offset0:90 offset1:135
	ds_store_2addr_b64 v58, v[5:6], v[7:8] offset0:180 offset1:225
	;; [unrolled: 1-line block ×4, first 2 shown]
	ds_store_b64 v58, v[17:18] offset:3600
.LBB0_3:
	s_or_b32 exec_lo, exec_lo, s3
	s_clause 0x1
	s_load_b64 s[4:5], s[0:1], 0x20
	s_load_b64 s[2:3], s[0:1], 0x8
	v_mov_b32_e32 v0, 0
	v_mov_b32_e32 v1, 0
	global_wb scope:SCOPE_SE
	s_wait_dscnt 0x0
	s_wait_kmcnt 0x0
	s_barrier_signal -1
	s_barrier_wait -1
	global_inv scope:SCOPE_SE
                                        ; implicit-def: $vgpr8
                                        ; implicit-def: $vgpr4
                                        ; implicit-def: $vgpr20
                                        ; implicit-def: $vgpr14
                                        ; implicit-def: $vgpr18
	s_and_saveexec_b32 s0, vcc_lo
	s_cbranch_execz .LBB0_5
; %bb.4:
	v_add_nc_u32_e32 v4, 0x800, v58
	ds_load_2addr_b64 v[0:3], v58 offset1:45
	ds_load_2addr_b64 v[16:19], v58 offset0:90 offset1:135
	ds_load_2addr_b64 v[12:15], v58 offset0:180 offset1:225
	;; [unrolled: 1-line block ×4, first 2 shown]
	ds_load_b64 v[20:21], v58 offset:3600
.LBB0_5:
	s_wait_alu 0xfffe
	s_or_b32 exec_lo, exec_lo, s0
	s_wait_dscnt 0x0
	v_dual_sub_f32 v44, v3, v21 :: v_dual_add_f32 v23, v6, v16
	v_dual_add_f32 v24, v21, v3 :: v_dual_sub_f32 v49, v16, v6
	v_sub_f32_e32 v60, v2, v20
	s_delay_alu instid0(VALU_DEP_3)
	v_mul_f32_e32 v32, 0xbf0a6770, v44
	v_sub_f32_e32 v48, v17, v7
	v_add_f32_e32 v22, v20, v2
	v_dual_mul_f32 v38, 0xbf68dda4, v44 :: v_dual_mul_f32 v35, 0xbf68dda4, v49
	global_wb scope:SCOPE_SE
	v_mul_f32_e32 v33, 0xbf68dda4, v48
	v_fmamk_f32 v25, v22, 0x3f575c64, v32
	v_dual_fmamk_f32 v27, v22, 0x3ed4b147, v38 :: v_dual_sub_f32 v62, v19, v5
	v_mul_f32_e32 v43, 0xbf4178ce, v48
	v_sub_f32_e32 v64, v18, v4
	s_delay_alu instid0(VALU_DEP_4) | instskip(SKIP_4) | instid1(VALU_DEP_4)
	v_dual_add_f32 v28, v25, v0 :: v_dual_add_f32 v25, v7, v17
	v_mul_f32_e32 v40, 0xbf68dda4, v60
	v_dual_add_f32 v39, v27, v0 :: v_dual_mul_f32 v46, 0xbf4178ce, v49
	v_add_f32_e32 v27, v5, v19
	v_fmamk_f32 v41, v23, 0xbf27a4f4, v43
	v_fma_f32 v29, 0x3ed4b147, v24, -v40
	v_mul_f32_e32 v34, 0xbf0a6770, v60
	v_fmamk_f32 v30, v23, 0x3ed4b147, v33
	v_fma_f32 v42, 0xbf27a4f4, v25, -v46
	v_add_f32_e32 v47, v41, v39
	v_add_f32_e32 v29, v29, v1
	v_fma_f32 v26, 0x3f575c64, v24, -v34
	v_add_f32_e32 v28, v30, v28
	v_fma_f32 v30, 0x3ed4b147, v25, -v35
	v_dual_mul_f32 v36, 0xbf7d64f0, v62 :: v_dual_mul_f32 v37, 0xbf7d64f0, v64
	s_delay_alu instid0(VALU_DEP_4) | instskip(SKIP_1) | instid1(VALU_DEP_2)
	v_dual_add_f32 v31, v26, v1 :: v_dual_add_f32 v26, v4, v18
	v_dual_mul_f32 v51, 0x3e903f40, v64 :: v_dual_add_f32 v42, v42, v29
	v_dual_sub_f32 v67, v12, v10 :: v_dual_add_f32 v30, v30, v31
	s_delay_alu instid0(VALU_DEP_4) | instskip(NEXT) | instid1(VALU_DEP_4)
	v_fma_f32 v31, 0xbe11bafb, v27, -v37
	v_fmamk_f32 v45, v26, 0xbe11bafb, v36
	s_delay_alu instid0(VALU_DEP_4) | instskip(NEXT) | instid1(VALU_DEP_4)
	v_fma_f32 v54, 0xbf75a155, v27, -v51
	v_mul_f32_e32 v41, 0xbf4178ce, v67
	s_delay_alu instid0(VALU_DEP_4) | instskip(NEXT) | instid1(VALU_DEP_4)
	v_dual_mul_f32 v61, 0x3f7d64f0, v67 :: v_dual_add_f32 v30, v31, v30
	v_add_f32_e32 v53, v45, v28
	v_dual_mul_f32 v45, 0x3e903f40, v62 :: v_dual_sub_f32 v66, v13, v11
	v_add_f32_e32 v54, v54, v42
	v_sub_f32_e32 v68, v15, v9
	s_barrier_signal -1
	s_delay_alu instid0(VALU_DEP_3) | instskip(SKIP_2) | instid1(VALU_DEP_3)
	v_fmamk_f32 v31, v26, 0xbf75a155, v45
	v_dual_add_f32 v28, v10, v12 :: v_dual_mul_f32 v39, 0xbf4178ce, v66
	v_dual_add_f32 v29, v11, v13 :: v_dual_mul_f32 v50, 0x3f7d64f0, v66
	;; [unrolled: 1-line block ×3, first 2 shown]
	s_delay_alu instid0(VALU_DEP_3) | instskip(NEXT) | instid1(VALU_DEP_3)
	v_fmamk_f32 v55, v28, 0xbf27a4f4, v39
	v_fma_f32 v47, 0xbf27a4f4, v29, -v41
	s_delay_alu instid0(VALU_DEP_4)
	v_fmamk_f32 v56, v28, 0xbe11bafb, v50
	v_mul_f32_e32 v63, 0x3f0a6770, v68
	s_barrier_wait -1
	v_add_f32_e32 v53, v55, v53
	v_add_f32_e32 v55, v47, v30
	;; [unrolled: 1-line block ×3, first 2 shown]
	v_fma_f32 v59, 0xbe11bafb, v29, -v61
	v_add_f32_e32 v56, v56, v31
	v_add_f32_e32 v31, v9, v15
	global_inv scope:SCOPE_SE
	v_fmamk_f32 v71, v30, 0x3f575c64, v63
	v_dual_add_f32 v59, v59, v54 :: v_dual_fmamk_f32 v54, v30, 0xbf75a155, v42
	v_sub_f32_e32 v69, v14, v8
	s_delay_alu instid0(VALU_DEP_2) | instskip(NEXT) | instid1(VALU_DEP_2)
	v_add_f32_e32 v53, v54, v53
	v_mul_f32_e32 v47, 0xbe903f40, v69
	v_mul_f32_e32 v65, 0x3f0a6770, v69
	s_delay_alu instid0(VALU_DEP_2) | instskip(NEXT) | instid1(VALU_DEP_2)
	v_fma_f32 v70, 0xbf75a155, v31, -v47
	v_fma_f32 v72, 0x3f575c64, v31, -v65
	s_delay_alu instid0(VALU_DEP_2) | instskip(NEXT) | instid1(VALU_DEP_2)
	v_dual_add_f32 v54, v70, v55 :: v_dual_add_f32 v55, v71, v56
	v_add_f32_e32 v56, v72, v59
	v_mul_lo_u16 v59, v57, 11
	s_and_saveexec_b32 s0, vcc_lo
	s_cbranch_execz .LBB0_7
; %bb.6:
	v_dual_mul_f32 v73, 0x3f0a6770, v49 :: v_dual_mul_f32 v78, 0x3f0a6770, v48
	v_dual_mul_f32 v74, 0xbf4178ce, v64 :: v_dual_mul_f32 v79, 0xbf4178ce, v62
	v_mul_f32_e32 v88, 0xbf0a6770, v64
	v_mul_f32_e32 v64, 0x3f68dda4, v64
	s_delay_alu instid0(VALU_DEP_4) | instskip(SKIP_4) | instid1(VALU_DEP_4)
	v_fma_f32 v83, 0x3f575c64, v23, -v78
	v_mul_f32_e32 v72, 0xbe903f40, v60
	v_fma_f32 v85, 0xbf27a4f4, v26, -v79
	v_dual_mul_f32 v94, 0x3f68dda4, v68 :: v_dual_add_f32 v3, v3, v1
	v_fmamk_f32 v82, v27, 0xbf27a4f4, v74
	v_fmamk_f32 v70, v24, 0xbf75a155, v72
	v_mul_f32_e32 v75, 0x3f68dda4, v67
	s_delay_alu instid0(VALU_DEP_4) | instskip(SKIP_1) | instid1(VALU_DEP_4)
	v_fma_f32 v95, 0x3ed4b147, v30, -v94
	v_add_f32_e32 v3, v17, v3
	v_dual_fmamk_f32 v71, v25, 0x3f575c64, v73 :: v_dual_add_f32 v70, v70, v1
	s_delay_alu instid0(VALU_DEP_4) | instskip(SKIP_2) | instid1(VALU_DEP_4)
	v_fmamk_f32 v84, v29, 0x3ed4b147, v75
	v_mul_f32_e32 v77, 0xbe903f40, v44
	v_dual_add_f32 v2, v2, v0 :: v_dual_mul_f32 v93, 0x3f68dda4, v69
	v_add_f32_e32 v70, v71, v70
	v_fmac_f32_e32 v79, 0xbf27a4f4, v26
	s_delay_alu instid0(VALU_DEP_4) | instskip(SKIP_3) | instid1(VALU_DEP_4)
	v_fma_f32 v80, 0xbf75a155, v22, -v77
	v_mul_f32_e32 v76, 0xbf7d64f0, v69
	v_add_f32_e32 v2, v16, v2
	v_add_f32_e32 v70, v82, v70
	v_dual_mul_f32 v82, 0x3f7d64f0, v49 :: v_dual_add_f32 v71, v80, v0
	v_mul_f32_e32 v49, 0x3e903f40, v49
	s_delay_alu instid0(VALU_DEP_3) | instskip(SKIP_1) | instid1(VALU_DEP_4)
	v_dual_mul_f32 v69, 0xbf4178ce, v69 :: v_dual_add_f32 v70, v84, v70
	v_fmac_f32_e32 v77, 0xbf75a155, v22
	v_add_f32_e32 v71, v83, v71
	v_fmamk_f32 v83, v31, 0xbe11bafb, v76
	s_delay_alu instid0(VALU_DEP_2) | instskip(NEXT) | instid1(VALU_DEP_1)
	v_dual_mul_f32 v80, 0xbf4178ce, v60 :: v_dual_add_f32 v71, v85, v71
	v_fmamk_f32 v86, v24, 0xbf27a4f4, v80
	s_delay_alu instid0(VALU_DEP_1) | instskip(NEXT) | instid1(VALU_DEP_1)
	v_dual_mul_f32 v81, 0x3f68dda4, v66 :: v_dual_add_f32 v86, v86, v1
	v_fma_f32 v84, 0x3ed4b147, v28, -v81
	v_mul_f32_e32 v85, 0xbf7d64f0, v68
	v_mul_f32_e32 v68, 0xbf4178ce, v68
	s_delay_alu instid0(VALU_DEP_3) | instskip(NEXT) | instid1(VALU_DEP_3)
	v_dual_fmac_f32 v81, 0x3ed4b147, v28 :: v_dual_add_f32 v84, v84, v71
	v_fma_f32 v90, 0xbe11bafb, v30, -v85
	v_add_f32_e32 v71, v83, v70
	v_mul_f32_e32 v83, 0x3f7d64f0, v48
	v_fmamk_f32 v87, v25, 0xbe11bafb, v82
	v_mul_f32_e32 v48, 0x3e903f40, v48
	v_add_f32_e32 v70, v90, v84
	v_mul_f32_e32 v89, 0xbf4178ce, v44
	v_mul_f32_e32 v44, 0xbf7d64f0, v44
	v_add_f32_e32 v86, v87, v86
	v_fmamk_f32 v87, v27, 0x3f575c64, v88
	v_fmac_f32_e32 v85, 0xbe11bafb, v30
	v_fma_f32 v91, 0xbf27a4f4, v22, -v89
	v_fmac_f32_e32 v78, 0x3f575c64, v23
	v_fmac_f32_e32 v89, 0xbf27a4f4, v22
	v_add_f32_e32 v84, v87, v86
	v_fma_f32 v87, 0xbe11bafb, v23, -v83
	v_dual_add_f32 v86, v91, v0 :: v_dual_mul_f32 v91, 0xbe903f40, v67
	v_mul_f32_e32 v67, 0xbf0a6770, v67
	s_delay_alu instid0(VALU_DEP_2) | instskip(SKIP_4) | instid1(VALU_DEP_4)
	v_dual_fmac_f32 v83, 0xbe11bafb, v23 :: v_dual_add_f32 v16, v87, v86
	v_mul_f32_e32 v90, 0xbf0a6770, v62
	v_dual_mul_f32 v86, 0xbe903f40, v66 :: v_dual_add_f32 v87, v19, v3
	v_mul_f32_e32 v62, 0x3f68dda4, v62
	v_mul_f32_e32 v66, 0xbf0a6770, v66
	v_fma_f32 v17, 0x3f575c64, v26, -v90
	v_fmamk_f32 v19, v25, 0xbf75a155, v49
	v_add_f32_e32 v13, v13, v87
	s_delay_alu instid0(VALU_DEP_4) | instskip(NEXT) | instid1(VALU_DEP_4)
	v_fma_f32 v96, 0x3f575c64, v28, -v66
	v_add_f32_e32 v3, v17, v16
	v_fma_f32 v16, 0xbf75a155, v28, -v86
	v_dual_fmamk_f32 v17, v31, 0x3ed4b147, v93 :: v_dual_add_f32 v92, v18, v2
	s_delay_alu instid0(VALU_DEP_2) | instskip(SKIP_1) | instid1(VALU_DEP_2)
	v_dual_add_f32 v13, v15, v13 :: v_dual_add_f32 v16, v16, v3
	v_fma_f32 v3, 0xbe11bafb, v22, -v44
	v_dual_add_f32 v12, v12, v92 :: v_dual_add_f32 v9, v9, v13
	s_delay_alu instid0(VALU_DEP_2) | instskip(NEXT) | instid1(VALU_DEP_2)
	v_dual_add_f32 v3, v3, v0 :: v_dual_fmamk_f32 v2, v29, 0xbf75a155, v91
	v_dual_add_f32 v12, v14, v12 :: v_dual_add_f32 v9, v11, v9
	v_fmac_f32_e32 v86, 0xbf75a155, v28
	s_delay_alu instid0(VALU_DEP_3) | instskip(SKIP_1) | instid1(VALU_DEP_4)
	v_add_f32_e32 v2, v2, v84
	v_fma_f32 v84, 0xbf75a155, v23, -v48
	v_dual_mul_f32 v60, 0xbf7d64f0, v60 :: v_dual_add_f32 v5, v5, v9
	s_delay_alu instid0(VALU_DEP_2) | instskip(SKIP_1) | instid1(VALU_DEP_1)
	v_add_f32_e32 v3, v84, v3
	v_fma_f32 v84, 0x3ed4b147, v26, -v62
	v_dual_add_f32 v5, v7, v5 :: v_dual_add_f32 v84, v84, v3
	v_add_f32_e32 v3, v17, v2
	v_fmamk_f32 v17, v31, 0xbf27a4f4, v69
	s_delay_alu instid0(VALU_DEP_3) | instskip(NEXT) | instid1(VALU_DEP_1)
	v_dual_fmamk_f32 v18, v24, 0xbe11bafb, v60 :: v_dual_add_f32 v5, v21, v5
	v_dual_add_f32 v11, v8, v12 :: v_dual_add_f32 v18, v18, v1
	s_delay_alu instid0(VALU_DEP_1) | instskip(SKIP_1) | instid1(VALU_DEP_3)
	v_add_f32_e32 v9, v10, v11
	v_fma_f32 v10, 0xbf75a155, v24, -v72
	v_add_f32_e32 v18, v19, v18
	s_delay_alu instid0(VALU_DEP_3) | instskip(NEXT) | instid1(VALU_DEP_3)
	v_dual_fmamk_f32 v19, v27, 0x3ed4b147, v64 :: v_dual_add_f32 v4, v4, v9
	v_add_f32_e32 v9, v10, v1
	v_fma_f32 v10, 0x3f575c64, v25, -v73
	s_delay_alu instid0(VALU_DEP_3) | instskip(SKIP_2) | instid1(VALU_DEP_4)
	v_dual_add_f32 v18, v19, v18 :: v_dual_fmamk_f32 v19, v29, 0x3f575c64, v67
	v_add_f32_e32 v2, v95, v16
	v_add_f32_e32 v4, v6, v4
	v_add_f32_e32 v6, v10, v9
	v_fma_f32 v9, 0xbf27a4f4, v27, -v74
	v_add_f32_e32 v16, v19, v18
	v_add_f32_e32 v18, v96, v84
	v_mul_f32_e32 v19, 0x3ed4b147, v24
	v_mul_f32_e32 v84, 0xbf27a4f4, v25
	v_add_f32_e32 v10, v77, v0
	v_dual_add_f32 v17, v17, v16 :: v_dual_mul_f32 v16, 0x3ed4b147, v22
	s_delay_alu instid0(VALU_DEP_4) | instskip(SKIP_3) | instid1(VALU_DEP_4)
	v_add_f32_e32 v19, v40, v19
	v_fma_f32 v40, 0xbf27a4f4, v30, -v68
	v_add_f32_e32 v46, v46, v84
	v_mul_f32_e32 v84, 0xbf27a4f4, v23
	v_dual_sub_f32 v38, v16, v38 :: v_dual_add_f32 v19, v19, v1
	s_delay_alu instid0(VALU_DEP_4) | instskip(SKIP_1) | instid1(VALU_DEP_4)
	v_add_f32_e32 v16, v40, v18
	v_mul_f32_e32 v18, 0xbf75a155, v27
	v_sub_f32_e32 v40, v84, v43
	s_delay_alu instid0(VALU_DEP_4) | instskip(SKIP_3) | instid1(VALU_DEP_4)
	v_dual_add_f32 v38, v38, v0 :: v_dual_mul_f32 v43, 0xbf75a155, v26
	v_add_f32_e32 v6, v9, v6
	v_fma_f32 v9, 0x3ed4b147, v29, -v75
	v_add_f32_e32 v10, v78, v10
	v_dual_add_f32 v38, v40, v38 :: v_dual_sub_f32 v43, v43, v45
	v_mul_f32_e32 v45, 0x3f575c64, v24
	v_fmac_f32_e32 v94, 0x3ed4b147, v30
	s_delay_alu instid0(VALU_DEP_3) | instskip(SKIP_2) | instid1(VALU_DEP_3)
	v_dual_add_f32 v38, v43, v38 :: v_dual_mul_f32 v43, 0x3f575c64, v31
	v_add_f32_e32 v19, v46, v19
	v_fmac_f32_e32 v48, 0xbf75a155, v23
	v_add_f32_e32 v43, v65, v43
	v_dual_mul_f32 v65, 0xbe11bafb, v27 :: v_dual_add_f32 v18, v51, v18
	v_dual_mul_f32 v51, 0x3ed4b147, v23 :: v_dual_fmac_f32 v62, 0x3ed4b147, v26
	s_delay_alu instid0(VALU_DEP_2) | instskip(SKIP_1) | instid1(VALU_DEP_3)
	v_dual_add_f32 v37, v37, v65 :: v_dual_add_f32 v18, v18, v19
	v_dual_mul_f32 v19, 0xbe11bafb, v28 :: v_dual_mul_f32 v40, 0xbe11bafb, v29
	v_sub_f32_e32 v33, v51, v33
	s_delay_alu instid0(VALU_DEP_2) | instskip(SKIP_3) | instid1(VALU_DEP_4)
	v_dual_sub_f32 v19, v19, v50 :: v_dual_add_f32 v40, v61, v40
	v_mul_f32_e32 v50, 0x3ed4b147, v25
	v_mul_f32_e32 v61, 0x3f575c64, v30
	v_fmac_f32_e32 v68, 0xbf27a4f4, v30
	v_dual_add_f32 v38, v19, v38 :: v_dual_add_f32 v19, v34, v45
	s_delay_alu instid0(VALU_DEP_4) | instskip(NEXT) | instid1(VALU_DEP_4)
	v_add_f32_e32 v35, v35, v50
	v_sub_f32_e32 v45, v61, v63
	v_dual_mul_f32 v61, 0xbf27a4f4, v29 :: v_dual_mul_f32 v34, 0xbf27a4f4, v28
	s_delay_alu instid0(VALU_DEP_4) | instskip(SKIP_3) | instid1(VALU_DEP_4)
	v_dual_add_f32 v63, v19, v1 :: v_dual_mul_f32 v46, 0x3f575c64, v22
	v_mul_f32_e32 v50, 0xbf75a155, v30
	v_add_f32_e32 v6, v9, v6
	v_fma_f32 v9, 0xbe11bafb, v31, -v76
	v_dual_add_f32 v35, v35, v63 :: v_dual_sub_f32 v32, v46, v32
	v_mul_f32_e32 v46, 0xbf75a155, v31
	s_delay_alu instid0(VALU_DEP_2) | instskip(NEXT) | instid1(VALU_DEP_3)
	v_dual_fmac_f32 v66, 0x3f575c64, v28 :: v_dual_add_f32 v15, v37, v35
	v_dual_add_f32 v35, v41, v61 :: v_dual_add_f32 v32, v32, v0
	s_delay_alu instid0(VALU_DEP_1) | instskip(NEXT) | instid1(VALU_DEP_4)
	v_add_f32_e32 v14, v35, v15
	v_add_f32_e32 v15, v47, v46
	;; [unrolled: 1-line block ×3, first 2 shown]
	v_mul_f32_e32 v40, 0xbe11bafb, v26
	v_add_f32_e32 v32, v33, v32
	s_delay_alu instid0(VALU_DEP_4) | instskip(NEXT) | instid1(VALU_DEP_4)
	v_add_f32_e32 v8, v15, v14
	v_add_f32_e32 v19, v43, v18
	s_delay_alu instid0(VALU_DEP_4) | instskip(SKIP_2) | instid1(VALU_DEP_3)
	v_dual_add_f32 v18, v45, v38 :: v_dual_sub_f32 v13, v40, v36
	v_and_b32_e32 v14, 0xffff, v59
	v_fma_f32 v15, 0xbf27a4f4, v31, -v69
	v_dual_add_f32 v12, v13, v32 :: v_dual_sub_f32 v13, v34, v39
	s_delay_alu instid0(VALU_DEP_1) | instskip(SKIP_3) | instid1(VALU_DEP_2)
	v_dual_add_f32 v11, v13, v12 :: v_dual_lshlrev_b32 v14, 3, v14
	v_sub_f32_e32 v12, v50, v42
	v_add_f32_e32 v13, v79, v10
	v_add_f32_e32 v10, v9, v6
	;; [unrolled: 1-line block ×5, first 2 shown]
	v_fma_f32 v11, 0xbf27a4f4, v24, -v80
	v_fma_f32 v12, 0xbe11bafb, v25, -v82
	v_add_f32_e32 v9, v85, v6
	v_fma_f32 v6, 0xbe11bafb, v24, -v60
	s_delay_alu instid0(VALU_DEP_4) | instskip(NEXT) | instid1(VALU_DEP_2)
	v_add_f32_e32 v11, v11, v1
	v_add_f32_e32 v1, v6, v1
	v_fma_f32 v6, 0xbf75a155, v25, -v49
	s_delay_alu instid0(VALU_DEP_3) | instskip(SKIP_2) | instid1(VALU_DEP_4)
	v_add_f32_e32 v11, v12, v11
	v_fma_f32 v12, 0x3f575c64, v27, -v88
	v_fmac_f32_e32 v44, 0xbe11bafb, v22
	v_dual_add_f32 v4, v20, v4 :: v_dual_add_f32 v1, v6, v1
	v_fma_f32 v6, 0x3ed4b147, v27, -v64
	s_delay_alu instid0(VALU_DEP_4) | instskip(SKIP_2) | instid1(VALU_DEP_4)
	v_add_f32_e32 v11, v12, v11
	v_fma_f32 v12, 0xbf75a155, v29, -v91
	v_add_f32_e32 v0, v44, v0
	v_dual_fmac_f32 v90, 0x3f575c64, v26 :: v_dual_add_f32 v1, v6, v1
	v_fma_f32 v6, 0x3f575c64, v29, -v67
	s_delay_alu instid0(VALU_DEP_4) | instskip(SKIP_2) | instid1(VALU_DEP_2)
	v_dual_add_f32 v11, v12, v11 :: v_dual_add_f32 v12, v83, v13
	v_fma_f32 v13, 0x3ed4b147, v31, -v93
	v_add_f32_e32 v0, v48, v0
	v_dual_add_f32 v6, v6, v1 :: v_dual_add_f32 v1, v13, v11
	s_delay_alu instid0(VALU_DEP_4) | instskip(NEXT) | instid1(VALU_DEP_3)
	v_add_f32_e32 v12, v90, v12
	v_add_f32_e32 v0, v62, v0
	s_delay_alu instid0(VALU_DEP_2) | instskip(NEXT) | instid1(VALU_DEP_2)
	v_add_f32_e32 v12, v86, v12
	v_add_f32_e32 v20, v66, v0
	s_delay_alu instid0(VALU_DEP_2) | instskip(NEXT) | instid1(VALU_DEP_2)
	v_add_f32_e32 v0, v94, v12
	v_dual_add_f32 v12, v15, v6 :: v_dual_add_f32 v11, v68, v20
	ds_store_2addr_b64 v14, v[4:5], v[7:8] offset1:1
	ds_store_2addr_b64 v14, v[18:19], v[16:17] offset0:2 offset1:3
	ds_store_2addr_b64 v14, v[2:3], v[70:71] offset0:4 offset1:5
	;; [unrolled: 1-line block ×4, first 2 shown]
	ds_store_b64 v14, v[53:54] offset:80
.LBB0_7:
	s_wait_alu 0xfffe
	s_or_b32 exec_lo, exec_lo, s0
	v_and_b32_e32 v0, 0xff, v57
	s_load_b128 s[4:7], s[4:5], 0x0
	global_wb scope:SCOPE_SE
	s_wait_dscnt 0x0
	s_wait_kmcnt 0x0
	s_barrier_signal -1
	s_barrier_wait -1
	v_mul_lo_u16 v0, 0x75, v0
	global_inv scope:SCOPE_SE
	v_cmp_gt_u16_e64 s0, 44, v57
	v_lshrrev_b16 v0, 8, v0
	s_delay_alu instid0(VALU_DEP_1) | instskip(NEXT) | instid1(VALU_DEP_1)
	v_sub_nc_u16 v1, v57, v0
	v_lshrrev_b16 v1, 1, v1
	s_delay_alu instid0(VALU_DEP_1) | instskip(NEXT) | instid1(VALU_DEP_1)
	v_and_b32_e32 v1, 0x7f, v1
	v_add_nc_u16 v0, v1, v0
	s_delay_alu instid0(VALU_DEP_1) | instskip(NEXT) | instid1(VALU_DEP_1)
	v_lshrrev_b16 v24, 3, v0
	v_mul_lo_u16 v0, v24, 11
	s_delay_alu instid0(VALU_DEP_1) | instskip(NEXT) | instid1(VALU_DEP_1)
	v_sub_nc_u16 v0, v57, v0
	v_and_b32_e32 v34, 0xff, v0
	s_delay_alu instid0(VALU_DEP_1)
	v_lshlrev_b32_e32 v0, 6, v34
	s_clause 0x3
	global_load_b128 v[20:23], v0, s[2:3]
	global_load_b128 v[16:19], v0, s[2:3] offset:16
	global_load_b128 v[12:15], v0, s[2:3] offset:32
	;; [unrolled: 1-line block ×3, first 2 shown]
	ds_load_2addr_b64 v[0:3], v58 offset1:55
	v_and_b32_e32 v32, 0xffff, v24
	v_add_nc_u32_e32 v61, 0x400, v58
	v_add_nc_u32_e32 v28, 0x800, v58
	ds_load_2addr_b64 v[4:7], v58 offset0:110 offset1:165
	v_mul_u32_u24_e32 v35, 0x63, v32
	s_delay_alu instid0(VALU_DEP_1)
	v_add_lshl_u32 v60, v35, v34, 3
	s_wait_loadcnt_dscnt 0x301
	v_mul_f32_e32 v34, v3, v21
	ds_load_2addr_b64 v[24:27], v61 offset0:92 offset1:147
	ds_load_2addr_b64 v[28:31], v28 offset0:74 offset1:129
	ds_load_b64 v[32:33], v58 offset:3520
	s_wait_dscnt 0x3
	v_dual_mul_f32 v35, v2, v21 :: v_dual_mul_f32 v36, v5, v23
	s_wait_loadcnt 0x2
	v_dual_mul_f32 v37, v4, v23 :: v_dual_mul_f32 v38, v7, v17
	v_mul_f32_e32 v39, v6, v17
	v_fma_f32 v2, v2, v20, -v34
	global_wb scope:SCOPE_SE
	s_wait_loadcnt_dscnt 0x0
	s_barrier_signal -1
	s_barrier_wait -1
	global_inv scope:SCOPE_SE
	v_fmac_f32_e32 v35, v3, v20
	v_fma_f32 v3, v4, v22, -v36
	v_fmac_f32_e32 v37, v5, v22
	v_dual_fmac_f32 v39, v7, v16 :: v_dual_mul_f32 v40, v25, v19
	v_mul_f32_e32 v47, v30, v9
	v_dual_mul_f32 v41, v24, v19 :: v_dual_mul_f32 v42, v27, v13
	v_mul_f32_e32 v49, v32, v11
	v_dual_mul_f32 v43, v26, v13 :: v_dual_mul_f32 v44, v29, v15
	v_dual_mul_f32 v45, v28, v15 :: v_dual_mul_f32 v46, v31, v9
	v_mul_f32_e32 v48, v33, v11
	v_fma_f32 v4, v6, v16, -v38
	v_fma_f32 v5, v24, v18, -v40
	;; [unrolled: 1-line block ×4, first 2 shown]
	v_fmac_f32_e32 v43, v27, v12
	v_fma_f32 v24, v32, v10, -v48
	v_fmac_f32_e32 v41, v25, v18
	v_fma_f32 v25, v30, v8, -v46
	v_fmac_f32_e32 v49, v33, v10
	v_fmac_f32_e32 v47, v31, v8
	v_dual_fmac_f32 v45, v29, v14 :: v_dual_add_f32 v26, v2, v24
	v_sub_f32_e32 v24, v2, v24
	v_add_f32_e32 v28, v3, v25
	v_dual_add_f32 v27, v35, v49 :: v_dual_sub_f32 v34, v5, v6
	s_delay_alu instid0(VALU_DEP_4)
	v_dual_add_f32 v30, v4, v7 :: v_dual_add_f32 v31, v39, v45
	v_add_f32_e32 v36, v5, v6
	v_sub_f32_e32 v32, v35, v49
	v_sub_f32_e32 v4, v4, v7
	v_add_f32_e32 v29, v37, v47
	v_dual_sub_f32 v33, v37, v47 :: v_dual_fmamk_f32 v40, v26, 0x3f441b7d, v0
	v_dual_sub_f32 v35, v41, v43 :: v_dual_fmamk_f32 v42, v27, 0x3f441b7d, v1
	v_dual_add_f32 v37, v41, v43 :: v_dual_fmamk_f32 v46, v36, 0x3f441b7d, v0
	v_dual_sub_f32 v25, v3, v25 :: v_dual_mul_f32 v38, 0x3f248dbb, v24
	v_dual_sub_f32 v7, v39, v45 :: v_dual_mul_f32 v44, 0xbf248dbb, v34
	v_dual_mul_f32 v39, 0x3f248dbb, v32 :: v_dual_add_f32 v50, v28, v26
	v_dual_mul_f32 v45, 0xbf248dbb, v35 :: v_dual_add_f32 v48, v34, v24
	v_dual_fmamk_f32 v47, v37, 0x3f441b7d, v1 :: v_dual_add_f32 v2, v30, v0
	v_dual_add_f32 v49, v35, v32 :: v_dual_mul_f32 v62, 0x3f7c1c5c, v34
	v_dual_add_f32 v51, v29, v27 :: v_dual_fmac_f32 v38, 0x3f7c1c5c, v25
	s_delay_alu instid0(VALU_DEP_4)
	v_dual_fmamk_f32 v65, v29, 0x3f441b7d, v1 :: v_dual_sub_f32 v48, v48, v25
	v_dual_add_f32 v3, v31, v1 :: v_dual_fmamk_f32 v64, v28, 0x3f441b7d, v0
	v_dual_mul_f32 v63, 0x3f7c1c5c, v35 :: v_dual_fmac_f32 v44, 0x3f7c1c5c, v24
	v_dual_fmac_f32 v39, 0x3f7c1c5c, v33 :: v_dual_add_f32 v66, v36, v50
	v_dual_fmac_f32 v40, 0x3e31d0d4, v28 :: v_dual_fmac_f32 v47, 0x3e31d0d4, v27
	v_dual_fmac_f32 v42, 0x3e31d0d4, v29 :: v_dual_add_f32 v67, v37, v51
	v_dual_fmac_f32 v45, 0x3f7c1c5c, v32 :: v_dual_add_f32 v50, v30, v50
	v_dual_fmac_f32 v46, 0x3e31d0d4, v26 :: v_dual_sub_f32 v49, v49, v33
	v_fma_f32 v62, 0xbf248dbb, v25, -v62
	v_dual_add_f32 v51, v31, v51 :: v_dual_fmac_f32 v64, 0x3e31d0d4, v36
	v_dual_fmac_f32 v65, 0x3e31d0d4, v37 :: v_dual_fmac_f32 v40, -0.5, v30
	v_fma_f32 v63, 0xbf248dbb, v33, -v63
	v_dual_fmac_f32 v38, 0x3f5db3d7, v4 :: v_dual_fmac_f32 v39, 0x3f5db3d7, v7
	v_dual_fmac_f32 v42, -0.5, v31 :: v_dual_mul_f32 v69, 0x3f5db3d7, v49
	v_dual_fmac_f32 v44, 0xbf5db3d7, v4 :: v_dual_fmac_f32 v45, 0xbf5db3d7, v7
	v_dual_fmac_f32 v46, -0.5, v30 :: v_dual_fmac_f32 v47, -0.5, v31
	v_dual_mul_f32 v68, 0x3f5db3d7, v48 :: v_dual_fmac_f32 v3, -0.5, v67
	v_fmac_f32_e32 v62, 0x3f5db3d7, v4
	v_dual_add_f32 v4, v5, v50 :: v_dual_fmac_f32 v65, -0.5, v31
	v_dual_add_f32 v5, v41, v51 :: v_dual_fmac_f32 v2, -0.5, v66
	v_dual_fmac_f32 v63, 0x3f5db3d7, v7 :: v_dual_fmac_f32 v64, -0.5, v30
	v_dual_fmac_f32 v39, 0x3eaf1d44, v35 :: v_dual_fmac_f32 v38, 0x3eaf1d44, v34
	v_fmac_f32_e32 v45, 0x3eaf1d44, v33
	v_dual_fmac_f32 v42, 0xbf708fb2, v37 :: v_dual_fmac_f32 v65, 0xbf708fb2, v27
	v_fmac_f32_e32 v46, 0xbf708fb2, v28
	v_dual_fmac_f32 v3, 0xbf5db3d7, v48 :: v_dual_add_f32 v28, v43, v5
	v_dual_fmac_f32 v44, 0x3eaf1d44, v25 :: v_dual_fmac_f32 v63, 0x3eaf1d44, v32
	v_fmac_f32_e32 v62, 0x3eaf1d44, v24
	s_delay_alu instid0(VALU_DEP_3) | instskip(SKIP_2) | instid1(VALU_DEP_4)
	v_dual_fmac_f32 v64, 0xbf708fb2, v26 :: v_dual_add_f32 v1, v28, v1
	v_add_f32_e32 v24, v6, v4
	v_dual_fmac_f32 v40, 0xbf708fb2, v36 :: v_dual_fmac_f32 v47, 0xbf708fb2, v29
	v_dual_sub_f32 v25, v65, v62 :: v_dual_fmac_f32 v2, 0x3f5db3d7, v49
	s_delay_alu instid0(VALU_DEP_3) | instskip(SKIP_1) | instid1(VALU_DEP_4)
	v_add_f32_e32 v0, v24, v0
	v_add_f32_e32 v24, v63, v64
	v_sub_f32_e32 v7, v47, v44
	v_sub_f32_e32 v5, v42, v38
	v_add_f32_e32 v6, v45, v46
	v_add_f32_e32 v4, v39, v40
	v_fma_f32 v32, -2.0, v63, v24
	v_fma_f32 v33, 2.0, v62, v25
	v_fma_f32 v34, -2.0, v69, v2
	v_fma_f32 v35, 2.0, v68, v3
	;; [unrolled: 2-line block ×4, first 2 shown]
	ds_store_2addr_b64 v60, v[0:1], v[4:5] offset1:11
	ds_store_2addr_b64 v60, v[6:7], v[2:3] offset0:22 offset1:33
	ds_store_2addr_b64 v60, v[24:25], v[32:33] offset0:44 offset1:55
	ds_store_2addr_b64 v60, v[34:35], v[48:49] offset0:66 offset1:77
	ds_store_b64 v60, v[50:51] offset:704
	global_wb scope:SCOPE_SE
	s_wait_dscnt 0x0
	s_barrier_signal -1
	s_barrier_wait -1
	global_inv scope:SCOPE_SE
	ds_load_2addr_b64 v[36:39], v58 offset1:99
	ds_load_2addr_b64 v[40:43], v61 offset0:70 offset1:169
	ds_load_b64 v[44:45], v58 offset:3168
	s_and_saveexec_b32 s1, s0
	s_cbranch_execz .LBB0_9
; %bb.8:
	ds_load_2addr_b64 v[32:35], v58 offset0:55 offset1:154
	ds_load_2addr_b64 v[48:51], v61 offset0:125 offset1:224
	ds_load_b64 v[55:56], v58 offset:3608
.LBB0_9:
	s_wait_alu 0xfffe
	s_or_b32 exec_lo, exec_lo, s1
	v_lshlrev_b32_e32 v0, 5, v57
	s_clause 0x1
	global_load_b128 v[28:31], v0, s[2:3] offset:704
	global_load_b128 v[24:27], v0, s[2:3] offset:720
	v_add_co_u32 v0, s1, v57, 55
	s_wait_alu 0xf1ff
	v_add_co_ci_u32_e64 v1, null, 0, 0, s1
	v_add_co_u32 v2, s1, 0xffffffd4, v57
	s_wait_alu 0xf1ff
	v_add_co_ci_u32_e64 v3, null, 0, -1, s1
	s_delay_alu instid0(VALU_DEP_2) | instskip(NEXT) | instid1(VALU_DEP_2)
	v_cndmask_b32_e64 v0, v2, v0, s0
	v_cndmask_b32_e64 v1, v3, v1, s0
	s_delay_alu instid0(VALU_DEP_1) | instskip(NEXT) | instid1(VALU_DEP_1)
	v_lshlrev_b64_e32 v[0:1], 5, v[0:1]
	v_add_co_u32 v0, s1, s2, v0
	s_wait_alu 0xf1ff
	s_delay_alu instid0(VALU_DEP_2)
	v_add_co_ci_u32_e64 v1, s1, s3, v1, s1
	s_clause 0x1
	global_load_b128 v[4:7], v[0:1], off offset:704
	global_load_b128 v[0:3], v[0:1], off offset:720
	s_wait_loadcnt_dscnt 0x301
	v_dual_mul_f32 v63, v40, v31 :: v_dual_mul_f32 v46, v39, v29
	s_wait_loadcnt_dscnt 0x200
	v_mul_f32_e32 v67, v44, v27
	v_dual_mul_f32 v47, v38, v29 :: v_dual_mul_f32 v62, v41, v31
	s_delay_alu instid0(VALU_DEP_3) | instskip(SKIP_2) | instid1(VALU_DEP_4)
	v_dual_mul_f32 v64, v43, v25 :: v_dual_fmac_f32 v63, v41, v30
	v_dual_mul_f32 v65, v42, v25 :: v_dual_mul_f32 v66, v45, v27
	v_fma_f32 v38, v38, v28, -v46
	v_fmac_f32_e32 v47, v39, v28
	v_fma_f32 v39, v40, v30, -v62
	v_fma_f32 v42, v42, v24, -v64
	v_fmac_f32_e32 v65, v43, v24
	v_fma_f32 v43, v44, v26, -v66
	v_add_f32_e32 v40, v36, v38
	v_dual_sub_f32 v44, v38, v39 :: v_dual_fmac_f32 v67, v45, v26
	s_delay_alu instid0(VALU_DEP_4) | instskip(NEXT) | instid1(VALU_DEP_4)
	v_sub_f32_e32 v64, v63, v65
	v_dual_add_f32 v41, v39, v42 :: v_dual_add_f32 v46, v38, v43
	v_dual_sub_f32 v66, v39, v38 :: v_dual_add_f32 v69, v37, v47
	v_dual_sub_f32 v45, v43, v42 :: v_dual_sub_f32 v68, v42, v43
	v_dual_add_f32 v70, v63, v65 :: v_dual_sub_f32 v71, v38, v43
	v_dual_sub_f32 v72, v39, v42 :: v_dual_add_f32 v39, v40, v39
	v_sub_f32_e32 v38, v47, v63
	v_dual_sub_f32 v73, v67, v65 :: v_dual_sub_f32 v76, v65, v67
	v_dual_sub_f32 v75, v63, v47 :: v_dual_add_f32 v66, v66, v68
	v_fma_f32 v40, -0.5, v41, v36
	v_fma_f32 v46, -0.5, v46, v36
	s_wait_loadcnt 0x1
	v_dual_add_f32 v36, v69, v63 :: v_dual_mul_f32 v69, v34, v5
	v_dual_add_f32 v74, v47, v67 :: v_dual_add_f32 v63, v38, v73
	v_dual_sub_f32 v62, v47, v67 :: v_dual_add_f32 v77, v44, v45
	v_fma_f32 v41, -0.5, v70, v37
	s_delay_alu instid0(VALU_DEP_3)
	v_fma_f32 v47, -0.5, v74, v37
	v_dual_add_f32 v68, v75, v76 :: v_dual_mul_f32 v73, v48, v7
	v_dual_mul_f32 v37, v35, v5 :: v_dual_mul_f32 v70, v49, v7
	s_wait_loadcnt 0x0
	v_mul_f32_e32 v75, v50, v1
	v_mul_f32_e32 v74, v51, v1
	;; [unrolled: 1-line block ×3, first 2 shown]
	v_dual_mul_f32 v78, v55, v3 :: v_dual_add_f32 v65, v36, v65
	v_dual_add_f32 v42, v39, v42 :: v_dual_fmamk_f32 v45, v72, 0x3f737871, v47
	v_dual_fmamk_f32 v38, v62, 0x3f737871, v40 :: v_dual_fmac_f32 v69, v35, v4
	v_dual_fmac_f32 v40, 0xbf737871, v62 :: v_dual_fmac_f32 v47, 0xbf737871, v72
	v_dual_fmamk_f32 v44, v64, 0xbf737871, v46 :: v_dual_fmac_f32 v73, v49, v6
	v_fmac_f32_e32 v46, 0x3f737871, v64
	v_fmamk_f32 v39, v71, 0xbf737871, v41
	v_fmac_f32_e32 v41, 0x3f737871, v71
	v_fma_f32 v34, v34, v4, -v37
	v_add_f32_e32 v37, v65, v67
	v_fma_f32 v35, v48, v6, -v70
	v_fma_f32 v48, v50, v0, -v74
	v_dual_fmac_f32 v75, v51, v0 :: v_dual_fmac_f32 v78, v56, v2
	v_fma_f32 v55, v55, v2, -v76
	v_dual_add_f32 v36, v42, v43 :: v_dual_fmac_f32 v39, 0xbf167918, v72
	v_dual_fmac_f32 v38, 0x3f167918, v64 :: v_dual_fmac_f32 v47, 0x3f167918, v71
	v_dual_fmac_f32 v40, 0xbf167918, v64 :: v_dual_fmac_f32 v45, 0xbf167918, v71
	;; [unrolled: 1-line block ×3, first 2 shown]
	v_dual_fmac_f32 v46, 0xbf167918, v62 :: v_dual_add_f32 v43, v35, v48
	v_dual_add_f32 v42, v32, v34 :: v_dual_sub_f32 v49, v34, v35
	v_dual_sub_f32 v56, v69, v78 :: v_dual_add_f32 v51, v34, v55
	v_dual_sub_f32 v50, v55, v48 :: v_dual_sub_f32 v65, v48, v55
	v_dual_sub_f32 v64, v35, v34 :: v_dual_add_f32 v67, v33, v69
	v_dual_add_f32 v70, v73, v75 :: v_dual_fmac_f32 v47, 0x3e9e377a, v68
	v_dual_sub_f32 v76, v78, v75 :: v_dual_add_f32 v79, v69, v78
	v_dual_sub_f32 v62, v73, v75 :: v_dual_fmac_f32 v45, 0x3e9e377a, v68
	v_dual_sub_f32 v71, v34, v55 :: v_dual_sub_f32 v72, v35, v48
	v_dual_sub_f32 v74, v69, v73 :: v_dual_fmac_f32 v39, 0x3e9e377a, v63
	v_dual_sub_f32 v69, v73, v69 :: v_dual_sub_f32 v80, v75, v78
	v_fmac_f32_e32 v44, 0x3e9e377a, v66
	v_add_f32_e32 v42, v42, v35
	v_fma_f32 v34, -0.5, v43, v32
	v_add_f32_e32 v64, v64, v65
	v_add_f32_e32 v43, v67, v73
	v_fma_f32 v35, -0.5, v70, v33
	v_fmac_f32_e32 v33, -0.5, v79
	v_fmac_f32_e32 v32, -0.5, v51
	v_dual_fmac_f32 v38, 0x3e9e377a, v77 :: v_dual_fmac_f32 v41, 0x3e9e377a, v63
	v_dual_fmac_f32 v40, 0x3e9e377a, v77 :: v_dual_add_f32 v63, v49, v50
	v_dual_fmac_f32 v46, 0x3e9e377a, v66 :: v_dual_add_f32 v65, v74, v76
	v_dual_add_f32 v66, v69, v80 :: v_dual_add_f32 v43, v43, v75
	v_dual_fmamk_f32 v49, v71, 0xbf737871, v35 :: v_dual_add_f32 v42, v42, v48
	v_dual_fmac_f32 v35, 0x3f737871, v71 :: v_dual_fmamk_f32 v48, v56, 0x3f737871, v34
	s_delay_alu instid0(VALU_DEP_3)
	v_dual_add_f32 v43, v43, v78 :: v_dual_fmac_f32 v34, 0xbf737871, v56
	v_fmamk_f32 v51, v72, 0x3f737871, v33
	v_dual_fmamk_f32 v50, v62, 0xbf737871, v32 :: v_dual_fmac_f32 v33, 0xbf737871, v72
	v_fmac_f32_e32 v32, 0x3f737871, v62
	v_dual_add_f32 v42, v42, v55 :: v_dual_fmac_f32 v49, 0xbf167918, v72
	v_dual_fmac_f32 v48, 0x3f167918, v62 :: v_dual_fmac_f32 v35, 0x3f167918, v72
	v_dual_fmac_f32 v34, 0xbf167918, v62 :: v_dual_fmac_f32 v51, 0xbf167918, v71
	;; [unrolled: 1-line block ×3, first 2 shown]
	v_fmac_f32_e32 v32, 0xbf167918, v56
	s_delay_alu instid0(VALU_DEP_4) | instskip(NEXT) | instid1(VALU_DEP_4)
	v_dual_fmac_f32 v48, 0x3e9e377a, v63 :: v_dual_fmac_f32 v49, 0x3e9e377a, v65
	v_dual_fmac_f32 v34, 0x3e9e377a, v63 :: v_dual_fmac_f32 v35, 0x3e9e377a, v65
	s_delay_alu instid0(VALU_DEP_4) | instskip(NEXT) | instid1(VALU_DEP_4)
	v_dual_fmac_f32 v50, 0x3e9e377a, v64 :: v_dual_fmac_f32 v51, 0x3e9e377a, v66
	v_dual_fmac_f32 v32, 0x3e9e377a, v64 :: v_dual_fmac_f32 v33, 0x3e9e377a, v66
	ds_store_2addr_b64 v58, v[36:37], v[38:39] offset1:99
	ds_store_2addr_b64 v61, v[44:45], v[46:47] offset0:70 offset1:169
	ds_store_b64 v58, v[40:41] offset:3168
	s_and_saveexec_b32 s1, s0
	s_cbranch_execz .LBB0_11
; %bb.10:
	v_add_nc_u32_e32 v55, 0x400, v58
	ds_store_2addr_b64 v58, v[42:43], v[48:49] offset0:55 offset1:154
	ds_store_2addr_b64 v55, v[50:51], v[32:33] offset0:125 offset1:224
	ds_store_b64 v58, v[34:35] offset:3608
.LBB0_11:
	s_wait_alu 0xfffe
	s_or_b32 exec_lo, exec_lo, s1
	global_wb scope:SCOPE_SE
	s_wait_dscnt 0x0
	s_barrier_signal -1
	s_barrier_wait -1
	global_inv scope:SCOPE_SE
	s_and_saveexec_b32 s1, vcc_lo
	s_cbranch_execz .LBB0_13
; %bb.12:
	global_load_b64 v[55:56], v58, s[12:13] offset:3960
	s_add_nc_u64 s[2:3], s[12:13], 0xf78
	s_clause 0x9
	global_load_b64 v[81:82], v58, s[2:3] offset:360
	global_load_b64 v[83:84], v58, s[2:3] offset:720
	global_load_b64 v[85:86], v58, s[2:3] offset:1080
	global_load_b64 v[87:88], v58, s[2:3] offset:1440
	global_load_b64 v[89:90], v58, s[2:3] offset:1800
	global_load_b64 v[91:92], v58, s[2:3] offset:2160
	global_load_b64 v[93:94], v58, s[2:3] offset:2520
	global_load_b64 v[95:96], v58, s[2:3] offset:2880
	global_load_b64 v[97:98], v58, s[2:3] offset:3240
	global_load_b64 v[99:100], v58, s[2:3] offset:3600
	ds_load_b64 v[61:62], v58
	v_add_nc_u32_e32 v101, 0x400, v58
	s_wait_loadcnt_dscnt 0xa00
	v_dual_mul_f32 v63, v62, v56 :: v_dual_add_nc_u32 v102, 0x800, v58
	v_mul_f32_e32 v64, v61, v56
	s_delay_alu instid0(VALU_DEP_2) | instskip(NEXT) | instid1(VALU_DEP_2)
	v_fma_f32 v63, v61, v55, -v63
	v_fmac_f32_e32 v64, v62, v55
	ds_store_b64 v58, v[63:64]
	ds_load_2addr_b64 v[61:64], v58 offset0:45 offset1:90
	ds_load_2addr_b64 v[65:68], v58 offset0:135 offset1:180
	ds_load_2addr_b64 v[69:72], v101 offset0:97 offset1:142
	ds_load_2addr_b64 v[73:76], v102 offset0:59 offset1:104
	ds_load_2addr_b64 v[77:80], v102 offset0:149 offset1:194
	s_wait_loadcnt_dscnt 0x502
	v_mul_f32_e32 v106, v70, v90
	v_mul_f32_e32 v55, v62, v82
	v_dual_mul_f32 v56, v61, v82 :: v_dual_mul_f32 v103, v64, v84
	v_mul_f32_e32 v82, v63, v84
	s_wait_loadcnt 0x4
	v_dual_mul_f32 v104, v66, v86 :: v_dual_mul_f32 v107, v72, v92
	s_wait_loadcnt_dscnt 0x201
	v_dual_mul_f32 v84, v65, v86 :: v_dual_mul_f32 v109, v76, v96
	v_mul_f32_e32 v105, v68, v88
	v_mul_f32_e32 v86, v67, v88
	;; [unrolled: 1-line block ×7, first 2 shown]
	s_wait_loadcnt_dscnt 0x100
	v_mul_f32_e32 v110, v78, v98
	s_wait_loadcnt 0x0
	v_dual_mul_f32 v96, v77, v98 :: v_dual_mul_f32 v111, v80, v100
	v_mul_f32_e32 v98, v79, v100
	v_fma_f32 v55, v61, v81, -v55
	v_fmac_f32_e32 v56, v62, v81
	v_fma_f32 v81, v63, v83, -v103
	v_fmac_f32_e32 v82, v64, v83
	;; [unrolled: 2-line block ×10, first 2 shown]
	ds_store_2addr_b64 v58, v[55:56], v[81:82] offset0:45 offset1:90
	ds_store_2addr_b64 v58, v[83:84], v[85:86] offset0:135 offset1:180
	;; [unrolled: 1-line block ×5, first 2 shown]
.LBB0_13:
	s_wait_alu 0xfffe
	s_or_b32 exec_lo, exec_lo, s1
	global_wb scope:SCOPE_SE
	s_wait_dscnt 0x0
	s_barrier_signal -1
	s_barrier_wait -1
	global_inv scope:SCOPE_SE
	s_and_saveexec_b32 s1, vcc_lo
	s_cbranch_execz .LBB0_15
; %bb.14:
	v_add_nc_u32_e32 v32, 0x800, v58
	ds_load_2addr_b64 v[36:39], v58 offset1:45
	ds_load_2addr_b64 v[44:47], v58 offset0:90 offset1:135
	ds_load_2addr_b64 v[40:43], v58 offset0:180 offset1:225
	;; [unrolled: 1-line block ×4, first 2 shown]
	ds_load_b64 v[53:54], v58 offset:3600
.LBB0_15:
	s_wait_alu 0xfffe
	s_or_b32 exec_lo, exec_lo, s1
	s_wait_dscnt 0x0
	v_dual_sub_f32 v72, v39, v54 :: v_dual_add_f32 v77, v54, v39
	v_dual_add_f32 v61, v53, v38 :: v_dual_sub_f32 v64, v38, v53
	v_add_f32_e32 v76, v49, v43
	s_delay_alu instid0(VALU_DEP_3) | instskip(NEXT) | instid1(VALU_DEP_4)
	v_dual_mul_f32 v80, 0xbf68dda4, v72 :: v_dual_sub_f32 v71, v45, v35
	v_dual_mul_f32 v85, 0x3ed4b147, v77 :: v_dual_add_f32 v62, v34, v44
	v_add_f32_e32 v78, v35, v45
	v_sub_f32_e32 v73, v47, v33
	s_delay_alu instid0(VALU_DEP_4) | instskip(NEXT) | instid1(VALU_DEP_4)
	v_mul_f32_e32 v79, 0xbf4178ce, v71
	v_dual_fmamk_f32 v56, v64, 0xbf68dda4, v85 :: v_dual_add_f32 v81, v33, v47
	v_fma_f32 v55, 0x3ed4b147, v61, -v80
	s_delay_alu instid0(VALU_DEP_4) | instskip(NEXT) | instid1(VALU_DEP_3)
	v_dual_mul_f32 v82, 0x3e903f40, v73 :: v_dual_sub_f32 v63, v44, v34
	v_dual_add_f32 v56, v37, v56 :: v_dual_mul_f32 v87, 0xbf27a4f4, v78
	v_dual_sub_f32 v66, v46, v32 :: v_dual_add_f32 v65, v32, v46
	s_delay_alu instid0(VALU_DEP_4) | instskip(NEXT) | instid1(VALU_DEP_3)
	v_dual_mul_f32 v88, 0xbf75a155, v81 :: v_dual_add_f32 v55, v36, v55
	v_fmamk_f32 v68, v63, 0xbf4178ce, v87
	v_fma_f32 v67, 0xbf27a4f4, v62, -v79
	s_delay_alu instid0(VALU_DEP_3) | instskip(NEXT) | instid1(VALU_DEP_3)
	v_dual_sub_f32 v74, v41, v51 :: v_dual_fmamk_f32 v69, v66, 0x3e903f40, v88
	v_dual_add_f32 v83, v51, v41 :: v_dual_add_f32 v56, v68, v56
	s_delay_alu instid0(VALU_DEP_3) | instskip(SKIP_1) | instid1(VALU_DEP_4)
	v_add_f32_e32 v55, v67, v55
	v_fma_f32 v68, 0xbf75a155, v65, -v82
	v_dual_add_f32 v67, v50, v40 :: v_dual_mul_f32 v84, 0x3f7d64f0, v74
	s_delay_alu instid0(VALU_DEP_4) | instskip(NEXT) | instid1(VALU_DEP_3)
	v_dual_mul_f32 v90, 0xbe11bafb, v83 :: v_dual_sub_f32 v75, v43, v49
	v_dual_add_f32 v55, v68, v55 :: v_dual_add_f32 v56, v69, v56
	v_sub_f32_e32 v68, v40, v50
	s_delay_alu instid0(VALU_DEP_4) | instskip(NEXT) | instid1(VALU_DEP_4)
	v_fma_f32 v91, 0xbe11bafb, v67, -v84
	v_dual_add_f32 v69, v48, v42 :: v_dual_mul_f32 v86, 0x3f0a6770, v75
	v_mul_f32_e32 v89, 0x3f575c64, v76
	s_delay_alu instid0(VALU_DEP_3)
	v_dual_fmamk_f32 v92, v68, 0x3f7d64f0, v90 :: v_dual_add_f32 v55, v91, v55
	global_wb scope:SCOPE_SE
	v_fma_f32 v91, 0x3f575c64, v69, -v86
	v_sub_f32_e32 v70, v42, v48
	v_add_f32_e32 v56, v92, v56
	s_barrier_signal -1
	s_barrier_wait -1
	s_delay_alu instid0(VALU_DEP_2)
	v_dual_add_f32 v55, v91, v55 :: v_dual_fmamk_f32 v92, v70, 0x3f0a6770, v89
	global_inv scope:SCOPE_SE
	v_add_f32_e32 v56, v92, v56
	s_and_saveexec_b32 s1, vcc_lo
	s_cbranch_execz .LBB0_17
; %bb.16:
	v_mul_f32_e32 v95, 0xbf75a155, v77
	v_dual_mul_f32 v99, 0x3f575c64, v78 :: v_dual_mul_f32 v108, 0x3f575c64, v69
	v_mul_f32_e32 v113, 0xbf27a4f4, v77
	v_mul_f32_e32 v130, 0xbf7d64f0, v72
	s_delay_alu instid0(VALU_DEP_4) | instskip(SKIP_3) | instid1(VALU_DEP_4)
	v_dual_fmamk_f32 v91, v64, 0x3e903f40, v95 :: v_dual_mul_f32 v102, 0x3e903f40, v66
	v_mul_f32_e32 v124, 0xbe11bafb, v77
	v_mul_f32_e32 v96, 0x3ed4b147, v61
	v_dual_mul_f32 v98, 0xbf27a4f4, v62 :: v_dual_mul_f32 v103, 0xbf27a4f4, v81
	v_dual_add_f32 v91, v37, v91 :: v_dual_mul_f32 v114, 0x3f68dda4, v74
	v_mul_f32_e32 v125, 0xbe903f40, v74
	v_mul_f32_e32 v119, 0xbf75a155, v83
	v_fmamk_f32 v133, v61, 0xbe11bafb, v130
	v_dual_mul_f32 v122, 0x3f7d64f0, v71 :: v_dual_fmamk_f32 v127, v64, 0x3f7d64f0, v124
	v_fmamk_f32 v115, v64, 0x3f4178ce, v113
	v_fmamk_f32 v92, v63, 0xbf0a6770, v99
	v_mul_f32_e32 v106, 0xbe903f40, v72
	v_dual_mul_f32 v109, 0x3f0a6770, v71 :: v_dual_mul_f32 v110, 0x3f0a6770, v70
	v_fmamk_f32 v117, v67, 0x3ed4b147, v114
	s_delay_alu instid0(VALU_DEP_4) | instskip(NEXT) | instid1(VALU_DEP_4)
	v_dual_add_f32 v91, v92, v91 :: v_dual_fmamk_f32 v92, v66, 0x3f4178ce, v103
	v_dual_fmamk_f32 v93, v61, 0xbf75a155, v106 :: v_dual_mul_f32 v128, 0xbf75a155, v78
	v_dual_fmamk_f32 v123, v68, 0x3e903f40, v119 :: v_dual_mul_f32 v134, 0x3e903f40, v71
	v_mul_f32_e32 v107, 0x3ed4b147, v83
	v_mul_f32_e32 v97, 0xbf68dda4, v64
	s_delay_alu instid0(VALU_DEP_4) | instskip(SKIP_1) | instid1(VALU_DEP_4)
	v_dual_mul_f32 v100, 0xbf4178ce, v63 :: v_dual_add_f32 v93, v36, v93
	v_dual_add_f32 v91, v92, v91 :: v_dual_fmamk_f32 v94, v62, 0x3f575c64, v109
	v_fmamk_f32 v92, v68, 0xbf68dda4, v107
	v_dual_mul_f32 v111, 0xbf4178ce, v73 :: v_dual_mul_f32 v118, 0xbf4178ce, v72
	v_mul_f32_e32 v105, 0x3f7d64f0, v68
	s_delay_alu instid0(VALU_DEP_3) | instskip(NEXT) | instid1(VALU_DEP_3)
	v_dual_mul_f32 v112, 0xbe11bafb, v76 :: v_dual_add_f32 v91, v92, v91
	v_dual_add_f32 v92, v94, v93 :: v_dual_fmamk_f32 v93, v65, 0xbf27a4f4, v111
	v_mul_f32_e32 v104, 0xbe11bafb, v67
	v_fmamk_f32 v121, v61, 0xbf27a4f4, v118
	v_dual_mul_f32 v116, 0xbe11bafb, v78 :: v_dual_add_f32 v79, v98, v79
	s_delay_alu instid0(VALU_DEP_4)
	v_add_f32_e32 v93, v93, v92
	v_mul_f32_e32 v131, 0x3f575c64, v83
	v_mul_f32_e32 v71, 0xbf68dda4, v71
	v_fmac_f32_e32 v99, 0x3f0a6770, v63
	v_sub_f32_e32 v85, v85, v97
	v_add_f32_e32 v93, v117, v93
	v_dual_mul_f32 v117, 0xbf7d64f0, v75 :: v_dual_add_f32 v80, v96, v80
	v_sub_f32_e32 v90, v90, v105
	s_delay_alu instid0(VALU_DEP_4) | instskip(NEXT) | instid1(VALU_DEP_3)
	v_dual_add_f32 v85, v37, v85 :: v_dual_mul_f32 v136, 0xbf4178ce, v75
	v_fmamk_f32 v120, v69, 0xbe11bafb, v117
	v_fmamk_f32 v94, v70, 0x3f7d64f0, v112
	v_mul_f32_e32 v97, 0xbf27a4f4, v76
	v_add_f32_e32 v38, v38, v36
	v_dual_fmamk_f32 v96, v69, 0xbf27a4f4, v136 :: v_dual_sub_f32 v87, v87, v100
	s_delay_alu instid0(VALU_DEP_4) | instskip(NEXT) | instid1(VALU_DEP_4)
	v_add_f32_e32 v92, v94, v91
	v_dual_fmamk_f32 v100, v70, 0x3f4178ce, v97 :: v_dual_add_f32 v91, v37, v115
	v_fmamk_f32 v94, v63, 0xbf7d64f0, v116
	v_mul_f32_e32 v115, 0x3f575c64, v81
	v_add_f32_e32 v85, v87, v85
	v_dual_sub_f32 v87, v88, v102 :: v_dual_mul_f32 v102, 0x3f575c64, v77
	v_add_f32_e32 v77, v36, v80
	v_add_f32_e32 v91, v94, v91
	v_fmamk_f32 v94, v66, 0x3f0a6770, v115
	v_mul_f32_e32 v101, 0xbf75a155, v65
	v_add_f32_e32 v85, v87, v85
	v_add_f32_e32 v77, v79, v77
	s_delay_alu instid0(VALU_DEP_4) | instskip(SKIP_2) | instid1(VALU_DEP_3)
	v_dual_sub_f32 v79, v89, v110 :: v_dual_add_f32 v94, v94, v91
	v_dual_add_f32 v91, v120, v93 :: v_dual_fmamk_f32 v120, v62, 0xbe11bafb, v122
	v_dual_add_f32 v39, v39, v37 :: v_dual_add_f32 v38, v44, v38
	v_dual_add_f32 v94, v123, v94 :: v_dual_mul_f32 v123, 0x3ed4b147, v76
	v_dual_add_f32 v80, v90, v85 :: v_dual_fmamk_f32 v85, v64, 0x3f0a6770, v102
	v_mul_f32_e32 v44, 0xbf75a155, v76
	v_mul_f32_e32 v135, 0x3f68dda4, v73
	s_delay_alu instid0(VALU_DEP_4) | instskip(SKIP_3) | instid1(VALU_DEP_4)
	v_fmamk_f32 v126, v70, 0xbf68dda4, v123
	v_dual_mul_f32 v129, 0x3ed4b147, v81 :: v_dual_mul_f32 v90, 0x3ed4b147, v78
	v_add_f32_e32 v78, v101, v82
	v_add_f32_e32 v82, v37, v85
	;; [unrolled: 1-line block ×3, first 2 shown]
	v_dual_add_f32 v126, v37, v127 :: v_dual_fmamk_f32 v127, v63, 0xbe903f40, v128
	v_dual_fmamk_f32 v85, v63, 0x3f68dda4, v90 :: v_dual_add_f32 v38, v46, v38
	v_dual_add_f32 v39, v45, v39 :: v_dual_mul_f32 v46, 0xbf7d64f0, v73
	s_delay_alu instid0(VALU_DEP_3) | instskip(SKIP_1) | instid1(VALU_DEP_4)
	v_dual_add_f32 v126, v127, v126 :: v_dual_fmamk_f32 v127, v66, 0xbf68dda4, v129
	v_dual_add_f32 v77, v78, v77 :: v_dual_add_f32 v78, v79, v80
	v_dual_mul_f32 v81, 0xbe11bafb, v81 :: v_dual_add_f32 v38, v40, v38
	s_delay_alu instid0(VALU_DEP_3) | instskip(SKIP_2) | instid1(VALU_DEP_3)
	v_dual_add_f32 v126, v127, v126 :: v_dual_fmamk_f32 v127, v68, 0x3f0a6770, v131
	v_dual_add_f32 v79, v85, v82 :: v_dual_fmamk_f32 v76, v62, 0x3ed4b147, v71
	;; [unrolled: 1-line block ×3, first 2 shown]
	v_dual_add_f32 v126, v127, v126 :: v_dual_add_f32 v93, v36, v121
	v_mul_f32_e32 v121, 0xbf0a6770, v73
	v_mul_f32_e32 v73, 0xbf4178ce, v74
	s_delay_alu instid0(VALU_DEP_3) | instskip(NEXT) | instid1(VALU_DEP_3)
	v_dual_add_f32 v39, v41, v39 :: v_dual_add_f32 v88, v100, v126
	v_dual_add_f32 v93, v120, v93 :: v_dual_fmamk_f32 v120, v65, 0x3f575c64, v121
	v_fmac_f32_e32 v107, 0x3f68dda4, v68
	s_delay_alu instid0(VALU_DEP_3) | instskip(SKIP_1) | instid1(VALU_DEP_4)
	v_dual_add_f32 v43, v43, v39 :: v_dual_fmac_f32 v112, 0xbf7d64f0, v70
	v_add_f32_e32 v84, v104, v84
	v_dual_add_f32 v93, v120, v93 :: v_dual_fmamk_f32 v120, v67, 0xbf75a155, v125
	v_fmac_f32_e32 v116, 0x3f7d64f0, v63
	s_delay_alu instid0(VALU_DEP_3) | instskip(NEXT) | instid1(VALU_DEP_3)
	v_dual_mul_f32 v72, 0xbf0a6770, v72 :: v_dual_add_f32 v77, v84, v77
	v_dual_add_f32 v38, v42, v38 :: v_dual_add_f32 v93, v120, v93
	v_mul_f32_e32 v120, 0x3f68dda4, v75
	v_fmamk_f32 v80, v66, 0x3f7d64f0, v81
	v_fmac_f32_e32 v119, 0xbe903f40, v68
	v_fmac_f32_e32 v113, 0xbf4178ce, v64
	v_dual_fmac_f32 v115, 0xbf0a6770, v66 :: v_dual_fmac_f32 v102, 0xbf0a6770, v64
	v_fmamk_f32 v132, v69, 0x3ed4b147, v120
	v_fmac_f32_e32 v123, 0x3f68dda4, v70
	v_fmac_f32_e32 v81, 0xbf7d64f0, v66
	v_fmac_f32_e32 v97, 0xbf4178ce, v70
	s_delay_alu instid0(VALU_DEP_4) | instskip(SKIP_3) | instid1(VALU_DEP_3)
	v_dual_mul_f32 v82, 0xbf27a4f4, v83 :: v_dual_add_f32 v93, v132, v93
	v_dual_add_f32 v132, v36, v133 :: v_dual_fmamk_f32 v133, v62, 0xbf75a155, v134
	v_dual_add_f32 v83, v108, v86 :: v_dual_fmamk_f32 v42, v67, 0xbf27a4f4, v73
	v_add_f32_e32 v79, v80, v79
	v_dual_fmamk_f32 v80, v68, 0x3f4178ce, v82 :: v_dual_add_f32 v127, v133, v132
	v_fmamk_f32 v132, v65, 0x3ed4b147, v135
	v_mul_f32_e32 v133, 0xbf0a6770, v74
	v_add_f32_e32 v38, v48, v38
	s_delay_alu instid0(VALU_DEP_4) | instskip(SKIP_1) | instid1(VALU_DEP_4)
	v_add_f32_e32 v45, v80, v79
	v_fmamk_f32 v79, v61, 0x3f575c64, v72
	v_dual_add_f32 v127, v132, v127 :: v_dual_fmamk_f32 v132, v67, 0x3f575c64, v133
	v_fmac_f32_e32 v131, 0xbf0a6770, v68
	v_fmac_f32_e32 v103, 0xbf4178ce, v66
	v_fmamk_f32 v41, v70, 0x3e903f40, v44
	s_delay_alu instid0(VALU_DEP_4) | instskip(SKIP_1) | instid1(VALU_DEP_3)
	v_dual_fmac_f32 v129, 0x3f68dda4, v66 :: v_dual_add_f32 v100, v132, v127
	v_fmac_f32_e32 v124, 0xbf7d64f0, v64
	v_dual_fmac_f32 v128, 0x3e903f40, v63 :: v_dual_add_f32 v39, v41, v45
	v_add_f32_e32 v41, v49, v43
	s_delay_alu instid0(VALU_DEP_4) | instskip(SKIP_2) | instid1(VALU_DEP_4)
	v_add_f32_e32 v87, v96, v100
	v_mul_f32_e32 v43, 0xbe903f40, v75
	v_fma_f32 v49, 0xbf75a155, v62, -v134
	v_dual_fmac_f32 v90, 0xbf68dda4, v63 :: v_dual_add_f32 v41, v51, v41
	v_fmac_f32_e32 v82, 0xbf4178ce, v68
	s_delay_alu instid0(VALU_DEP_2) | instskip(SKIP_1) | instid1(VALU_DEP_2)
	v_dual_fmac_f32 v44, 0xbe903f40, v70 :: v_dual_add_f32 v33, v33, v41
	v_add_f32_e32 v41, v50, v38
	v_add_f32_e32 v33, v35, v33
	s_delay_alu instid0(VALU_DEP_2) | instskip(SKIP_2) | instid1(VALU_DEP_2)
	v_add_f32_e32 v32, v32, v41
	v_add_f32_e32 v47, v36, v79
	v_fma_f32 v41, 0x3f575c64, v62, -v109
	v_dual_add_f32 v32, v34, v32 :: v_dual_add_f32 v47, v76, v47
	s_delay_alu instid0(VALU_DEP_1) | instskip(NEXT) | instid1(VALU_DEP_2)
	v_dual_add_f32 v32, v53, v32 :: v_dual_add_f32 v77, v83, v77
	v_add_f32_e32 v40, v40, v47
	v_fma_f32 v47, 0xbe11bafb, v62, -v122
	s_delay_alu instid0(VALU_DEP_2) | instskip(SKIP_1) | instid1(VALU_DEP_1)
	v_add_f32_e32 v40, v42, v40
	v_fmamk_f32 v42, v69, 0xbf75a155, v43
	v_add_f32_e32 v38, v42, v40
	v_add_f32_e32 v42, v37, v113
	v_fma_f32 v40, 0xbf75a155, v61, -v106
	v_fma_f32 v50, 0xbf75a155, v69, -v43
	s_delay_alu instid0(VALU_DEP_3) | instskip(NEXT) | instid1(VALU_DEP_1)
	v_dual_add_f32 v42, v116, v42 :: v_dual_fmac_f32 v95, 0xbe903f40, v64
	v_dual_add_f32 v40, v36, v40 :: v_dual_add_f32 v45, v37, v95
	s_delay_alu instid0(VALU_DEP_1) | instskip(NEXT) | instid1(VALU_DEP_1)
	v_add_f32_e32 v35, v99, v45
	v_dual_add_f32 v34, v103, v35 :: v_dual_add_f32 v35, v41, v40
	v_fma_f32 v40, 0xbf27a4f4, v65, -v111
	v_fma_f32 v41, 0x3ed4b147, v67, -v114
	s_delay_alu instid0(VALU_DEP_3) | instskip(NEXT) | instid1(VALU_DEP_3)
	v_add_f32_e32 v34, v107, v34
	v_add_f32_e32 v40, v40, v35
	s_delay_alu instid0(VALU_DEP_2) | instskip(SKIP_1) | instid1(VALU_DEP_3)
	v_add_f32_e32 v35, v112, v34
	v_fma_f32 v34, 0xbf27a4f4, v61, -v118
	v_add_f32_e32 v40, v41, v40
	v_fma_f32 v41, 0xbe11bafb, v69, -v117
	s_delay_alu instid0(VALU_DEP_1) | instskip(SKIP_2) | instid1(VALU_DEP_3)
	v_dual_add_f32 v45, v36, v34 :: v_dual_add_f32 v34, v41, v40
	v_add_f32_e32 v40, v115, v42
	v_fma_f32 v42, 0x3f575c64, v65, -v121
	v_add_f32_e32 v41, v47, v45
	v_add_f32_e32 v45, v37, v124
	v_fma_f32 v47, 0xbf75a155, v67, -v125
	v_dual_add_f32 v40, v119, v40 :: v_dual_add_f32 v37, v37, v102
	s_delay_alu instid0(VALU_DEP_4) | instskip(NEXT) | instid1(VALU_DEP_4)
	v_add_f32_e32 v42, v42, v41
	v_add_f32_e32 v45, v128, v45
	;; [unrolled: 1-line block ×3, first 2 shown]
	s_delay_alu instid0(VALU_DEP_4) | instskip(SKIP_4) | instid1(VALU_DEP_4)
	v_add_f32_e32 v41, v123, v40
	v_fma_f32 v40, 0xbe11bafb, v61, -v130
	v_add_f32_e32 v42, v47, v42
	v_fma_f32 v47, 0x3ed4b147, v69, -v120
	v_add_f32_e32 v45, v129, v45
	v_dual_add_f32 v37, v90, v37 :: v_dual_add_f32 v48, v36, v40
	s_delay_alu instid0(VALU_DEP_3) | instskip(NEXT) | instid1(VALU_DEP_3)
	v_add_f32_e32 v40, v47, v42
	v_add_f32_e32 v42, v131, v45
	v_fma_f32 v45, 0x3f575c64, v61, -v72
	s_delay_alu instid0(VALU_DEP_4) | instskip(SKIP_2) | instid1(VALU_DEP_4)
	v_add_f32_e32 v47, v49, v48
	v_fma_f32 v48, 0x3ed4b147, v65, -v135
	v_add_f32_e32 v37, v81, v37
	v_add_f32_e32 v36, v36, v45
	v_fma_f32 v45, 0x3ed4b147, v62, -v71
	s_delay_alu instid0(VALU_DEP_4)
	v_add_f32_e32 v47, v48, v47
	v_fma_f32 v48, 0x3f575c64, v67, -v133
	v_add_f32_e32 v49, v82, v37
	v_add_f32_e32 v37, v97, v42
	v_add_f32_e32 v36, v45, v36
	v_fma_f32 v45, 0xbe11bafb, v65, -v46
	v_add_f32_e32 v46, v48, v47
	v_and_b32_e32 v48, 0xffff, v59
	v_fma_f32 v47, 0xbf27a4f4, v69, -v136
	s_delay_alu instid0(VALU_DEP_4) | instskip(SKIP_1) | instid1(VALU_DEP_4)
	v_dual_add_f32 v43, v44, v49 :: v_dual_add_f32 v36, v45, v36
	v_fma_f32 v45, 0xbf27a4f4, v67, -v73
	v_lshlrev_b32_e32 v48, 3, v48
	s_delay_alu instid0(VALU_DEP_2) | instskip(NEXT) | instid1(VALU_DEP_1)
	v_dual_add_f32 v45, v45, v36 :: v_dual_add_f32 v36, v47, v46
	v_add_f32_e32 v42, v50, v45
	ds_store_2addr_b64 v48, v[32:33], v[38:39] offset1:1
	ds_store_2addr_b64 v48, v[77:78], v[87:88] offset0:2 offset1:3
	ds_store_2addr_b64 v48, v[93:94], v[91:92] offset0:4 offset1:5
	;; [unrolled: 1-line block ×4, first 2 shown]
	ds_store_b64 v48, v[42:43] offset:80
.LBB0_17:
	s_wait_alu 0xfffe
	s_or_b32 exec_lo, exec_lo, s1
	global_wb scope:SCOPE_SE
	s_wait_dscnt 0x0
	s_barrier_signal -1
	s_barrier_wait -1
	global_inv scope:SCOPE_SE
	ds_load_2addr_b64 v[35:38], v58 offset1:55
	ds_load_2addr_b64 v[39:42], v58 offset0:110 offset1:165
	v_add_nc_u32_e32 v34, 0x400, v58
	s_wait_dscnt 0x0
	v_dual_mul_f32 v53, v23, v40 :: v_dual_add_nc_u32 v32, 0x800, v58
	v_dual_mul_f32 v23, v23, v39 :: v_dual_mul_f32 v54, v17, v42
	v_mul_f32_e32 v51, v21, v38
	v_mul_f32_e32 v21, v21, v37
	ds_load_2addr_b64 v[43:46], v34 offset0:92 offset1:147
	ds_load_2addr_b64 v[47:50], v32 offset0:74 offset1:129
	ds_load_b64 v[32:33], v58 offset:3520
	v_mul_f32_e32 v17, v17, v41
	v_fmac_f32_e32 v54, v16, v41
	v_fmac_f32_e32 v51, v20, v37
	v_fma_f32 v20, v20, v38, -v21
	v_fma_f32 v21, v22, v40, -v23
	v_fmac_f32_e32 v53, v22, v39
	global_wb scope:SCOPE_SE
	s_wait_dscnt 0x0
	s_barrier_signal -1
	s_barrier_wait -1
	global_inv scope:SCOPE_SE
	v_mul_f32_e32 v23, v13, v46
	v_dual_mul_f32 v13, v13, v45 :: v_dual_mul_f32 v22, v19, v44
	v_fma_f32 v16, v16, v42, -v17
	s_delay_alu instid0(VALU_DEP_3) | instskip(NEXT) | instid1(VALU_DEP_3)
	v_fmac_f32_e32 v23, v12, v45
	v_fma_f32 v38, v12, v46, -v13
	v_mul_f32_e32 v12, v11, v33
	v_mul_f32_e32 v17, v19, v43
	;; [unrolled: 1-line block ×4, first 2 shown]
	v_fmac_f32_e32 v22, v18, v43
	v_fmac_f32_e32 v12, v10, v32
	v_fma_f32 v37, v18, v44, -v17
	v_fma_f32 v10, v10, v33, -v11
	v_mul_f32_e32 v19, v15, v48
	v_mul_f32_e32 v15, v9, v50
	;; [unrolled: 1-line block ×3, first 2 shown]
	s_delay_alu instid0(VALU_DEP_4) | instskip(SKIP_1) | instid1(VALU_DEP_4)
	v_dual_add_f32 v11, v51, v12 :: v_dual_sub_f32 v32, v20, v10
	v_sub_f32_e32 v45, v37, v38
	v_fmac_f32_e32 v15, v8, v49
	s_delay_alu instid0(VALU_DEP_4) | instskip(SKIP_1) | instid1(VALU_DEP_4)
	v_fma_f32 v8, v8, v50, -v9
	v_dual_add_f32 v10, v20, v10 :: v_dual_sub_f32 v9, v51, v12
	v_mul_f32_e32 v20, 0xbf248dbb, v45
	s_delay_alu instid0(VALU_DEP_2) | instskip(NEXT) | instid1(VALU_DEP_2)
	v_mul_f32_e32 v12, 0x3f248dbb, v9
	v_fmac_f32_e32 v20, 0x3f7c1c5c, v32
	v_sub_f32_e32 v39, v21, v8
	v_add_f32_e32 v8, v21, v8
	v_fma_f32 v13, v14, v48, -v13
	v_sub_f32_e32 v33, v53, v15
	v_add_f32_e32 v48, v37, v38
	s_delay_alu instid0(VALU_DEP_3) | instskip(NEXT) | instid1(VALU_DEP_3)
	v_dual_add_f32 v49, v45, v32 :: v_dual_add_f32 v46, v16, v13
	v_dual_fmac_f32 v19, v14, v47 :: v_dual_fmac_f32 v12, 0x3f7c1c5c, v33
	v_mul_f32_e32 v14, 0x3f248dbb, v32
	v_sub_f32_e32 v42, v16, v13
	v_sub_f32_e32 v44, v22, v23
	s_delay_alu instid0(VALU_DEP_4) | instskip(SKIP_4) | instid1(VALU_DEP_4)
	v_add_f32_e32 v43, v54, v19
	v_sub_f32_e32 v41, v54, v19
	v_fmac_f32_e32 v14, 0x3f7c1c5c, v39
	v_fmac_f32_e32 v20, 0xbf5db3d7, v42
	v_mul_f32_e32 v13, 0xbf248dbb, v44
	v_fmac_f32_e32 v12, 0x3f5db3d7, v41
	s_delay_alu instid0(VALU_DEP_4) | instskip(SKIP_1) | instid1(VALU_DEP_3)
	v_fmac_f32_e32 v14, 0x3f5db3d7, v42
	v_dual_add_f32 v40, v53, v15 :: v_dual_add_f32 v21, v44, v9
	v_fmac_f32_e32 v12, 0x3eaf1d44, v44
	s_delay_alu instid0(VALU_DEP_3) | instskip(NEXT) | instid1(VALU_DEP_3)
	v_dual_fmac_f32 v14, 0x3eaf1d44, v45 :: v_dual_add_f32 v47, v22, v23
	v_dual_fmamk_f32 v17, v10, 0x3f441b7d, v36 :: v_dual_add_f32 v50, v40, v11
	v_fmac_f32_e32 v20, 0x3eaf1d44, v39
	v_mul_f32_e32 v44, 0x3f7c1c5c, v44
	s_delay_alu instid0(VALU_DEP_4) | instskip(NEXT) | instid1(VALU_DEP_4)
	v_fmamk_f32 v18, v47, 0x3f441b7d, v35
	v_fmac_f32_e32 v17, 0x3e31d0d4, v8
	s_delay_alu instid0(VALU_DEP_3) | instskip(NEXT) | instid1(VALU_DEP_3)
	v_fma_f32 v44, 0xbf248dbb, v33, -v44
	v_fmac_f32_e32 v18, 0x3e31d0d4, v11
	v_fmamk_f32 v15, v11, 0x3f441b7d, v35
	s_delay_alu instid0(VALU_DEP_3) | instskip(NEXT) | instid1(VALU_DEP_2)
	v_dual_fmac_f32 v17, -0.5, v46 :: v_dual_fmac_f32 v44, 0x3f5db3d7, v41
	v_dual_fmac_f32 v18, -0.5, v43 :: v_dual_fmac_f32 v15, 0x3e31d0d4, v40
	s_delay_alu instid0(VALU_DEP_2) | instskip(NEXT) | instid1(VALU_DEP_3)
	v_fmac_f32_e32 v17, 0xbf708fb2, v48
	v_fmac_f32_e32 v44, 0x3eaf1d44, v9
	s_delay_alu instid0(VALU_DEP_3) | instskip(SKIP_1) | instid1(VALU_DEP_2)
	v_dual_fmac_f32 v18, 0xbf708fb2, v40 :: v_dual_fmac_f32 v15, -0.5, v43
	v_fmamk_f32 v19, v48, 0x3f441b7d, v36
	v_dual_add_f32 v17, v12, v17 :: v_dual_sub_f32 v18, v18, v20
	s_delay_alu instid0(VALU_DEP_3) | instskip(NEXT) | instid1(VALU_DEP_3)
	v_fmac_f32_e32 v15, 0xbf708fb2, v47
	v_fmac_f32_e32 v19, 0x3e31d0d4, v10
	s_delay_alu instid0(VALU_DEP_2) | instskip(NEXT) | instid1(VALU_DEP_2)
	v_sub_f32_e32 v16, v15, v14
	v_fmac_f32_e32 v19, -0.5, v46
	v_fma_f32 v15, -2.0, v12, v17
	v_fma_f32 v12, 2.0, v20, v18
	v_dual_add_f32 v20, v43, v35 :: v_dual_fmac_f32 v13, 0x3f7c1c5c, v9
	v_add_f32_e32 v54, v47, v50
	v_add_f32_e32 v9, v43, v50
	v_fma_f32 v14, 2.0, v14, v16
	s_delay_alu instid0(VALU_DEP_3) | instskip(SKIP_3) | instid1(VALU_DEP_1)
	v_fmac_f32_e32 v20, -0.5, v54
	v_add_f32_e32 v53, v8, v10
	v_fmac_f32_e32 v19, 0xbf708fb2, v8
	v_dual_fmamk_f32 v8, v8, 0x3f441b7d, v36 :: v_dual_sub_f32 v49, v49, v39
	v_dual_add_f32 v9, v22, v9 :: v_dual_fmac_f32 v8, 0x3e31d0d4, v48
	v_fmac_f32_e32 v13, 0xbf5db3d7, v41
	s_delay_alu instid0(VALU_DEP_2) | instskip(SKIP_2) | instid1(VALU_DEP_4)
	v_add_f32_e32 v9, v23, v9
	v_mul_f32_e32 v45, 0x3f7c1c5c, v45
	v_fmac_f32_e32 v20, 0xbf5db3d7, v49
	v_dual_fmac_f32 v8, -0.5, v46 :: v_dual_fmac_f32 v13, 0x3eaf1d44, v33
	v_mul_f32_e32 v54, 0x3f5db3d7, v49
	s_delay_alu instid0(VALU_DEP_4) | instskip(NEXT) | instid1(VALU_DEP_3)
	v_fma_f32 v39, 0xbf248dbb, v39, -v45
	v_dual_fmac_f32 v8, 0xbf708fb2, v10 :: v_dual_sub_f32 v51, v21, v33
	v_add_f32_e32 v21, v46, v36
	v_fmamk_f32 v33, v40, 0x3f441b7d, v35
	s_delay_alu instid0(VALU_DEP_4) | instskip(NEXT) | instid1(VALU_DEP_4)
	v_dual_fmac_f32 v39, 0x3f5db3d7, v42 :: v_dual_add_f32 v40, v46, v53
	v_add_f32_e32 v23, v44, v8
	v_mul_f32_e32 v59, 0x3f5db3d7, v51
	s_delay_alu instid0(VALU_DEP_4) | instskip(NEXT) | instid1(VALU_DEP_4)
	v_fmac_f32_e32 v33, 0x3e31d0d4, v47
	v_fmac_f32_e32 v39, 0x3eaf1d44, v32
	v_add_f32_e32 v22, v37, v40
	v_add_f32_e32 v19, v13, v19
	;; [unrolled: 1-line block ×3, first 2 shown]
	v_fmac_f32_e32 v33, -0.5, v43
	v_fma_f32 v9, -2.0, v44, v23
	v_add_f32_e32 v37, v38, v22
	v_fma_f32 v13, -2.0, v13, v19
	v_fma_f32 v10, 2.0, v54, v20
	v_fmac_f32_e32 v33, 0xbf708fb2, v11
	s_delay_alu instid0(VALU_DEP_1) | instskip(NEXT) | instid1(VALU_DEP_1)
	v_dual_add_f32 v61, v48, v53 :: v_dual_sub_f32 v22, v33, v39
	v_fmac_f32_e32 v21, -0.5, v61
	v_add_f32_e32 v33, v37, v36
	s_delay_alu instid0(VALU_DEP_3) | instskip(NEXT) | instid1(VALU_DEP_3)
	v_fma_f32 v8, 2.0, v39, v22
	v_fmac_f32_e32 v21, 0x3f5db3d7, v51
	s_delay_alu instid0(VALU_DEP_1)
	v_fma_f32 v11, -2.0, v59, v21
	ds_store_2addr_b64 v60, v[32:33], v[16:17] offset1:11
	ds_store_2addr_b64 v60, v[18:19], v[20:21] offset0:22 offset1:33
	ds_store_2addr_b64 v60, v[22:23], v[8:9] offset0:44 offset1:55
	;; [unrolled: 1-line block ×3, first 2 shown]
	ds_store_b64 v60, v[14:15] offset:704
	global_wb scope:SCOPE_SE
	s_wait_dscnt 0x0
	s_barrier_signal -1
	s_barrier_wait -1
	global_inv scope:SCOPE_SE
	ds_load_2addr_b64 v[16:19], v58 offset1:99
	ds_load_2addr_b64 v[20:23], v34 offset0:70 offset1:169
	ds_load_b64 v[32:33], v58 offset:3168
	s_and_saveexec_b32 s1, s0
	s_cbranch_execz .LBB0_19
; %bb.18:
	ds_load_2addr_b64 v[8:11], v58 offset0:55 offset1:154
	ds_load_2addr_b64 v[12:15], v34 offset0:125 offset1:224
	ds_load_b64 v[55:56], v58 offset:3608
.LBB0_19:
	s_wait_alu 0xfffe
	s_or_b32 exec_lo, exec_lo, s1
	s_wait_dscnt 0x1
	v_dual_mul_f32 v35, v31, v21 :: v_dual_mul_f32 v36, v25, v23
	v_mul_f32_e32 v37, v29, v19
	v_mul_f32_e32 v29, v29, v18
	s_delay_alu instid0(VALU_DEP_3) | instskip(NEXT) | instid1(VALU_DEP_1)
	v_dual_fmac_f32 v35, v30, v20 :: v_dual_fmac_f32 v36, v24, v22
	v_dual_fmac_f32 v37, v28, v18 :: v_dual_add_f32 v18, v35, v36
	v_mul_f32_e32 v31, v31, v20
	s_wait_dscnt 0x0
	v_mul_f32_e32 v20, v27, v32
	v_fma_f32 v28, v28, v19, -v29
	v_fma_f32 v18, -0.5, v18, v16
	v_fma_f32 v29, v30, v21, -v31
	v_mul_f32_e32 v21, v27, v33
	v_fma_f32 v30, v26, v33, -v20
	v_dual_mul_f32 v19, v25, v22 :: v_dual_add_f32 v20, v16, v37
	s_delay_alu instid0(VALU_DEP_3) | instskip(NEXT) | instid1(VALU_DEP_3)
	v_fmac_f32_e32 v21, v26, v32
	v_sub_f32_e32 v25, v28, v30
	s_delay_alu instid0(VALU_DEP_3) | instskip(NEXT) | instid1(VALU_DEP_3)
	v_fma_f32 v26, v24, v23, -v19
	v_add_f32_e32 v22, v37, v21
	s_delay_alu instid0(VALU_DEP_2) | instskip(SKIP_1) | instid1(VALU_DEP_3)
	v_sub_f32_e32 v23, v29, v26
	v_sub_f32_e32 v33, v30, v26
	v_fma_f32 v16, -0.5, v22, v16
	v_dual_add_f32 v19, v20, v35 :: v_dual_fmamk_f32 v20, v25, 0xbf737871, v18
	v_sub_f32_e32 v24, v37, v35
	v_fmac_f32_e32 v18, 0x3f737871, v25
	s_delay_alu instid0(VALU_DEP_4) | instskip(NEXT) | instid1(VALU_DEP_4)
	v_fmamk_f32 v22, v23, 0x3f737871, v16
	v_dual_fmac_f32 v20, 0xbf167918, v23 :: v_dual_sub_f32 v27, v21, v36
	s_delay_alu instid0(VALU_DEP_2) | instskip(SKIP_1) | instid1(VALU_DEP_3)
	v_fmac_f32_e32 v22, 0xbf167918, v25
	v_sub_f32_e32 v31, v36, v21
	v_add_f32_e32 v27, v24, v27
	s_delay_alu instid0(VALU_DEP_1) | instskip(NEXT) | instid1(VALU_DEP_1)
	v_dual_add_f32 v19, v19, v36 :: v_dual_fmac_f32 v20, 0x3e9e377a, v27
	v_add_f32_e32 v24, v19, v21
	v_dual_fmac_f32 v18, 0x3f167918, v23 :: v_dual_add_f32 v19, v29, v26
	v_dual_fmac_f32 v16, 0xbf737871, v23 :: v_dual_add_f32 v23, v17, v28
	s_delay_alu instid0(VALU_DEP_2) | instskip(NEXT) | instid1(VALU_DEP_3)
	v_dual_fmac_f32 v18, 0x3e9e377a, v27 :: v_dual_sub_f32 v27, v35, v37
	v_fma_f32 v19, -0.5, v19, v17
	v_sub_f32_e32 v32, v37, v21
	s_delay_alu instid0(VALU_DEP_4) | instskip(NEXT) | instid1(VALU_DEP_4)
	v_dual_fmac_f32 v16, 0x3f167918, v25 :: v_dual_add_f32 v25, v28, v30
	v_add_f32_e32 v27, v27, v31
	v_add_f32_e32 v23, v23, v29
	s_delay_alu instid0(VALU_DEP_4) | instskip(SKIP_1) | instid1(VALU_DEP_4)
	v_fmamk_f32 v21, v32, 0x3f737871, v19
	v_fmac_f32_e32 v19, 0xbf737871, v32
	v_fmac_f32_e32 v22, 0x3e9e377a, v27
	v_dual_fmac_f32 v16, 0x3e9e377a, v27 :: v_dual_sub_f32 v27, v28, v29
	v_sub_f32_e32 v28, v29, v28
	v_fma_f32 v17, -0.5, v25, v17
	v_add_f32_e32 v25, v23, v26
	v_dual_sub_f32 v26, v26, v30 :: v_dual_sub_f32 v31, v35, v36
	v_add_f32_e32 v27, v27, v33
	s_delay_alu instid0(VALU_DEP_3) | instskip(NEXT) | instid1(VALU_DEP_3)
	v_add_f32_e32 v25, v25, v30
	v_dual_add_f32 v26, v28, v26 :: v_dual_fmamk_f32 v23, v31, 0xbf737871, v17
	v_fmac_f32_e32 v17, 0x3f737871, v31
	v_fmac_f32_e32 v21, 0x3f167918, v31
	v_fmac_f32_e32 v19, 0xbf167918, v31
	s_delay_alu instid0(VALU_DEP_4) | instskip(NEXT) | instid1(VALU_DEP_4)
	v_fmac_f32_e32 v23, 0x3f167918, v32
	v_fmac_f32_e32 v17, 0xbf167918, v32
	s_delay_alu instid0(VALU_DEP_4) | instskip(NEXT) | instid1(VALU_DEP_4)
	v_fmac_f32_e32 v21, 0x3e9e377a, v27
	v_fmac_f32_e32 v19, 0x3e9e377a, v27
	s_delay_alu instid0(VALU_DEP_4) | instskip(NEXT) | instid1(VALU_DEP_4)
	v_fmac_f32_e32 v23, 0x3e9e377a, v26
	v_fmac_f32_e32 v17, 0x3e9e377a, v26
	ds_store_2addr_b64 v58, v[24:25], v[20:21] offset1:99
	ds_store_2addr_b64 v34, v[22:23], v[16:17] offset0:70 offset1:169
	ds_store_b64 v58, v[18:19] offset:3168
	s_and_saveexec_b32 s1, s0
	s_cbranch_execz .LBB0_21
; %bb.20:
	v_dual_mul_f32 v16, v5, v10 :: v_dual_mul_f32 v17, v3, v55
	v_dual_mul_f32 v18, v5, v11 :: v_dual_mul_f32 v19, v7, v12
	v_mul_f32_e32 v5, v1, v14
	s_delay_alu instid0(VALU_DEP_3) | instskip(SKIP_1) | instid1(VALU_DEP_4)
	v_fma_f32 v11, v4, v11, -v16
	v_mul_f32_e32 v16, v7, v13
	v_fmac_f32_e32 v18, v4, v10
	v_fma_f32 v4, v6, v13, -v19
	s_delay_alu instid0(VALU_DEP_4) | instskip(SKIP_1) | instid1(VALU_DEP_3)
	v_dual_mul_f32 v10, v1, v15 :: v_dual_add_f32 v1, v11, v9
	v_fma_f32 v13, v0, v15, -v5
	v_sub_f32_e32 v19, v11, v4
	s_delay_alu instid0(VALU_DEP_3) | instskip(NEXT) | instid1(VALU_DEP_3)
	v_dual_add_f32 v1, v4, v1 :: v_dual_fmac_f32 v16, v6, v12
	v_dual_add_f32 v6, v18, v8 :: v_dual_add_f32 v5, v4, v13
	s_delay_alu instid0(VALU_DEP_2) | instskip(NEXT) | instid1(VALU_DEP_2)
	v_dual_fmac_f32 v10, v0, v14 :: v_dual_add_f32 v1, v13, v1
	v_add_f32_e32 v0, v16, v6
	v_fma_f32 v6, v2, v56, -v17
	s_delay_alu instid0(VALU_DEP_1) | instskip(NEXT) | instid1(VALU_DEP_1)
	v_dual_mul_f32 v12, v3, v56 :: v_dual_add_f32 v1, v6, v1
	v_dual_fmac_f32 v12, v2, v55 :: v_dual_sub_f32 v15, v13, v6
	s_delay_alu instid0(VALU_DEP_1) | instskip(SKIP_1) | instid1(VALU_DEP_1)
	v_dual_sub_f32 v17, v18, v12 :: v_dual_sub_f32 v14, v16, v10
	v_add_f32_e32 v2, v11, v6
	v_fma_f32 v3, -0.5, v2, v9
	v_dual_fmac_f32 v9, -0.5, v5 :: v_dual_add_f32 v0, v10, v0
	s_delay_alu instid0(VALU_DEP_2) | instskip(SKIP_1) | instid1(VALU_DEP_3)
	v_fmamk_f32 v5, v14, 0x3f737871, v3
	v_dual_fmac_f32 v3, 0xbf737871, v14 :: v_dual_sub_f32 v2, v4, v11
	v_dual_add_f32 v0, v12, v0 :: v_dual_fmamk_f32 v7, v17, 0xbf737871, v9
	v_sub_f32_e32 v20, v6, v13
	s_delay_alu instid0(VALU_DEP_3) | instskip(NEXT) | instid1(VALU_DEP_4)
	v_dual_fmac_f32 v5, 0xbf167918, v17 :: v_dual_add_f32 v2, v2, v15
	v_fmac_f32_e32 v3, 0x3f167918, v17
	v_fmac_f32_e32 v9, 0x3f737871, v17
	v_sub_f32_e32 v11, v11, v6
	v_sub_f32_e32 v13, v4, v13
	v_add_f32_e32 v17, v18, v12
	v_fmac_f32_e32 v7, 0xbf167918, v14
	v_add_f32_e32 v15, v19, v20
	v_fmac_f32_e32 v5, 0x3e9e377a, v2
	v_sub_f32_e32 v19, v10, v12
	v_fmac_f32_e32 v3, 0x3e9e377a, v2
	v_fma_f32 v2, -0.5, v17, v8
	s_delay_alu instid0(VALU_DEP_1) | instskip(SKIP_3) | instid1(VALU_DEP_2)
	v_fmamk_f32 v4, v13, 0xbf737871, v2
	v_fmac_f32_e32 v9, 0x3f167918, v14
	v_dual_add_f32 v14, v16, v10 :: v_dual_fmac_f32 v7, 0x3e9e377a, v15
	v_sub_f32_e32 v10, v12, v10
	v_fmac_f32_e32 v8, -0.5, v14
	v_sub_f32_e32 v14, v18, v16
	s_delay_alu instid0(VALU_DEP_2) | instskip(SKIP_2) | instid1(VALU_DEP_3)
	v_fmamk_f32 v6, v11, 0x3f737871, v8
	v_dual_fmac_f32 v8, 0xbf737871, v11 :: v_dual_sub_f32 v17, v16, v18
	v_fmac_f32_e32 v2, 0x3f737871, v13
	v_fmac_f32_e32 v6, 0x3f167918, v13
	s_delay_alu instid0(VALU_DEP_3)
	v_fmac_f32_e32 v8, 0xbf167918, v13
	v_fmac_f32_e32 v4, 0x3f167918, v11
	v_dual_add_f32 v10, v14, v10 :: v_dual_fmac_f32 v9, 0x3e9e377a, v15
	v_add_f32_e32 v12, v17, v19
	v_fmac_f32_e32 v2, 0xbf167918, v11
	v_add_nc_u32_e32 v11, 0x400, v58
	s_delay_alu instid0(VALU_DEP_4)
	v_fmac_f32_e32 v8, 0x3e9e377a, v10
	v_fmac_f32_e32 v6, 0x3e9e377a, v10
	;; [unrolled: 1-line block ×4, first 2 shown]
	ds_store_2addr_b64 v58, v[0:1], v[8:9] offset0:55 offset1:154
	ds_store_2addr_b64 v11, v[2:3], v[4:5] offset0:125 offset1:224
	ds_store_b64 v58, v[6:7] offset:3608
.LBB0_21:
	s_wait_alu 0xfffe
	s_or_b32 exec_lo, exec_lo, s1
	global_wb scope:SCOPE_SE
	s_wait_dscnt 0x0
	s_barrier_signal -1
	s_barrier_wait -1
	global_inv scope:SCOPE_SE
	s_and_b32 exec_lo, exec_lo, vcc_lo
	s_cbranch_execz .LBB0_23
; %bb.22:
	s_clause 0xa
	global_load_b64 v[20:21], v58, s[12:13]
	global_load_b64 v[22:23], v58, s[12:13] offset:360
	global_load_b64 v[24:25], v58, s[12:13] offset:720
	;; [unrolled: 1-line block ×10, first 2 shown]
	ds_load_b64 v[44:45], v58
	ds_load_2addr_b64 v[0:3], v58 offset0:45 offset1:90
	v_mad_co_u64_u32 v[42:43], null, s6, v52, 0
	v_mad_co_u64_u32 v[46:47], null, s4, v57, 0
	v_add_nc_u32_e32 v8, 0x400, v58
	ds_load_2addr_b64 v[4:7], v58 offset0:135 offset1:180
	v_add_nc_u32_e32 v16, 0x800, v58
	s_mov_b32 s0, 0xb37565e2
	v_mov_b32_e32 v12, v43
	s_mov_b32 s1, 0x3f608cab
	v_mov_b32_e32 v43, v47
	ds_load_2addr_b64 v[8:11], v8 offset0:97 offset1:142
	s_mul_u64 s[2:3], s[4:5], 0x168
	v_mad_co_u64_u32 v[48:49], null, s7, v52, v[12:13]
	s_wait_dscnt 0x3
	v_mad_co_u64_u32 v[49:50], null, s5, v57, v[43:44]
	s_delay_alu instid0(VALU_DEP_2) | instskip(NEXT) | instid1(VALU_DEP_1)
	v_mov_b32_e32 v43, v48
	v_lshlrev_b64_e32 v[42:43], 3, v[42:43]
	s_delay_alu instid0(VALU_DEP_1) | instskip(NEXT) | instid1(VALU_DEP_2)
	v_add_co_u32 v42, vcc_lo, s8, v42
	v_add_co_ci_u32_e32 v43, vcc_lo, s9, v43, vcc_lo
	s_wait_loadcnt 0xa
	v_mul_f32_e32 v47, v45, v21
	ds_load_2addr_b64 v[12:15], v16 offset0:59 offset1:104
	ds_load_2addr_b64 v[16:19], v16 offset0:149 offset1:194
	s_wait_loadcnt_dscnt 0x904
	v_dual_mul_f32 v21, v44, v21 :: v_dual_mul_f32 v48, v1, v23
	s_wait_loadcnt 0x8
	v_dual_mul_f32 v23, v0, v23 :: v_dual_mul_f32 v50, v3, v25
	v_mul_f32_e32 v25, v2, v25
	s_wait_loadcnt_dscnt 0x603
	v_dual_mul_f32 v51, v5, v27 :: v_dual_mul_f32 v52, v7, v29
	s_wait_loadcnt_dscnt 0x402
	v_dual_mul_f32 v27, v4, v27 :: v_dual_mul_f32 v54, v11, v33
	v_mul_f32_e32 v29, v6, v29
	v_mul_f32_e32 v53, v9, v31
	;; [unrolled: 1-line block ×3, first 2 shown]
	v_fmac_f32_e32 v47, v44, v20
	v_fma_f32 v20, v20, v45, -v21
	v_dual_mul_f32 v33, v10, v33 :: v_dual_fmac_f32 v48, v0, v22
	v_fma_f32 v21, v22, v1, -v23
	s_wait_loadcnt_dscnt 0x301
	v_dual_fmac_f32 v50, v2, v24 :: v_dual_mul_f32 v55, v13, v35
	v_dual_mul_f32 v35, v12, v35 :: v_dual_fmac_f32 v52, v6, v28
	v_fma_f32 v22, v24, v3, -v25
	s_wait_loadcnt 0x2
	v_mul_f32_e32 v56, v15, v37
	v_mul_f32_e32 v37, v14, v37
	s_wait_loadcnt_dscnt 0x0
	v_dual_mul_f32 v58, v19, v41 :: v_dual_fmac_f32 v51, v4, v26
	v_fma_f32 v23, v26, v5, -v27
	v_dual_mul_f32 v57, v17, v39 :: v_dual_fmac_f32 v54, v10, v32
	v_dual_mul_f32 v39, v16, v39 :: v_dual_fmac_f32 v56, v14, v36
	v_mul_f32_e32 v41, v18, v41
	v_fma_f32 v24, v28, v7, -v29
	v_fmac_f32_e32 v53, v8, v30
	v_fma_f32 v25, v30, v9, -v31
	v_cvt_f64_f32_e32 v[0:1], v47
	v_cvt_f64_f32_e32 v[2:3], v20
	v_fma_f32 v26, v32, v11, -v33
	v_cvt_f64_f32_e32 v[4:5], v48
	v_cvt_f64_f32_e32 v[6:7], v21
	v_fmac_f32_e32 v55, v12, v34
	v_fma_f32 v30, v34, v13, -v35
	v_cvt_f64_f32_e32 v[8:9], v50
	v_cvt_f64_f32_e32 v[10:11], v22
	v_fma_f32 v34, v36, v15, -v37
	v_fmac_f32_e32 v58, v18, v40
	v_cvt_f64_f32_e32 v[12:13], v51
	v_cvt_f64_f32_e32 v[14:15], v23
	v_fmac_f32_e32 v57, v16, v38
	v_fma_f32 v38, v38, v17, -v39
	v_fma_f32 v44, v40, v19, -v41
	v_cvt_f64_f32_e32 v[16:17], v52
	v_cvt_f64_f32_e32 v[18:19], v24
	;; [unrolled: 1-line block ×14, first 2 shown]
	v_mov_b32_e32 v47, v49
	s_delay_alu instid0(VALU_DEP_1)
	v_lshlrev_b64_e32 v[46:47], 3, v[46:47]
	s_wait_alu 0xfffe
	v_mul_f64_e32 v[0:1], s[0:1], v[0:1]
	v_mul_f64_e32 v[2:3], s[0:1], v[2:3]
	;; [unrolled: 1-line block ×4, first 2 shown]
	v_add_co_u32 v42, vcc_lo, v42, v46
	v_mul_f64_e32 v[8:9], s[0:1], v[8:9]
	v_mul_f64_e32 v[10:11], s[0:1], v[10:11]
	s_wait_alu 0xfffd
	v_add_co_ci_u32_e32 v43, vcc_lo, v43, v47, vcc_lo
	v_mul_f64_e32 v[12:13], s[0:1], v[12:13]
	v_mul_f64_e32 v[14:15], s[0:1], v[14:15]
	v_add_co_u32 v46, vcc_lo, v42, s2
	s_wait_alu 0xfffd
	v_add_co_ci_u32_e32 v47, vcc_lo, s3, v43, vcc_lo
	v_mul_f64_e32 v[16:17], s[0:1], v[16:17]
	v_mul_f64_e32 v[18:19], s[0:1], v[18:19]
	;; [unrolled: 1-line block ×14, first 2 shown]
	v_add_co_u32 v48, vcc_lo, v46, s2
	s_wait_alu 0xfffd
	v_add_co_ci_u32_e32 v49, vcc_lo, s3, v47, vcc_lo
	s_delay_alu instid0(VALU_DEP_2)
	v_add_co_u32 v50, vcc_lo, v48, s2
	v_cvt_f32_f64_e32 v0, v[0:1]
	v_cvt_f32_f64_e32 v1, v[2:3]
	s_wait_alu 0xfffd
	v_add_co_ci_u32_e32 v51, vcc_lo, s3, v49, vcc_lo
	v_cvt_f32_f64_e32 v2, v[4:5]
	v_cvt_f32_f64_e32 v3, v[6:7]
	v_add_co_u32 v52, vcc_lo, v50, s2
	v_cvt_f32_f64_e32 v4, v[8:9]
	v_cvt_f32_f64_e32 v5, v[10:11]
	s_wait_alu 0xfffd
	v_add_co_ci_u32_e32 v53, vcc_lo, s3, v51, vcc_lo
	v_cvt_f32_f64_e32 v6, v[12:13]
	v_cvt_f32_f64_e32 v7, v[14:15]
	;; [unrolled: 1-line block ×16, first 2 shown]
	v_add_co_u32 v22, vcc_lo, v52, s2
	s_wait_alu 0xfffd
	v_add_co_ci_u32_e32 v23, vcc_lo, s3, v53, vcc_lo
	s_delay_alu instid0(VALU_DEP_2) | instskip(SKIP_1) | instid1(VALU_DEP_2)
	v_add_co_u32 v24, vcc_lo, v22, s2
	s_wait_alu 0xfffd
	v_add_co_ci_u32_e32 v25, vcc_lo, s3, v23, vcc_lo
	s_delay_alu instid0(VALU_DEP_2) | instskip(SKIP_1) | instid1(VALU_DEP_2)
	;; [unrolled: 4-line block ×5, first 2 shown]
	v_add_co_u32 v32, vcc_lo, v30, s2
	s_wait_alu 0xfffd
	v_add_co_ci_u32_e32 v33, vcc_lo, s3, v31, vcc_lo
	s_clause 0x4
	global_store_b64 v[42:43], v[0:1], off
	global_store_b64 v[46:47], v[2:3], off
	;; [unrolled: 1-line block ×11, first 2 shown]
.LBB0_23:
	s_nop 0
	s_sendmsg sendmsg(MSG_DEALLOC_VGPRS)
	s_endpgm
	.section	.rodata,"a",@progbits
	.p2align	6, 0x0
	.amdhsa_kernel bluestein_single_fwd_len495_dim1_sp_op_CI_CI
		.amdhsa_group_segment_fixed_size 3960
		.amdhsa_private_segment_fixed_size 0
		.amdhsa_kernarg_size 104
		.amdhsa_user_sgpr_count 2
		.amdhsa_user_sgpr_dispatch_ptr 0
		.amdhsa_user_sgpr_queue_ptr 0
		.amdhsa_user_sgpr_kernarg_segment_ptr 1
		.amdhsa_user_sgpr_dispatch_id 0
		.amdhsa_user_sgpr_private_segment_size 0
		.amdhsa_wavefront_size32 1
		.amdhsa_uses_dynamic_stack 0
		.amdhsa_enable_private_segment 0
		.amdhsa_system_sgpr_workgroup_id_x 1
		.amdhsa_system_sgpr_workgroup_id_y 0
		.amdhsa_system_sgpr_workgroup_id_z 0
		.amdhsa_system_sgpr_workgroup_info 0
		.amdhsa_system_vgpr_workitem_id 0
		.amdhsa_next_free_vgpr 137
		.amdhsa_next_free_sgpr 14
		.amdhsa_reserve_vcc 1
		.amdhsa_float_round_mode_32 0
		.amdhsa_float_round_mode_16_64 0
		.amdhsa_float_denorm_mode_32 3
		.amdhsa_float_denorm_mode_16_64 3
		.amdhsa_fp16_overflow 0
		.amdhsa_workgroup_processor_mode 1
		.amdhsa_memory_ordered 1
		.amdhsa_forward_progress 0
		.amdhsa_round_robin_scheduling 0
		.amdhsa_exception_fp_ieee_invalid_op 0
		.amdhsa_exception_fp_denorm_src 0
		.amdhsa_exception_fp_ieee_div_zero 0
		.amdhsa_exception_fp_ieee_overflow 0
		.amdhsa_exception_fp_ieee_underflow 0
		.amdhsa_exception_fp_ieee_inexact 0
		.amdhsa_exception_int_div_zero 0
	.end_amdhsa_kernel
	.text
.Lfunc_end0:
	.size	bluestein_single_fwd_len495_dim1_sp_op_CI_CI, .Lfunc_end0-bluestein_single_fwd_len495_dim1_sp_op_CI_CI
                                        ; -- End function
	.section	.AMDGPU.csdata,"",@progbits
; Kernel info:
; codeLenInByte = 12024
; NumSgprs: 16
; NumVgprs: 137
; ScratchSize: 0
; MemoryBound: 0
; FloatMode: 240
; IeeeMode: 1
; LDSByteSize: 3960 bytes/workgroup (compile time only)
; SGPRBlocks: 1
; VGPRBlocks: 17
; NumSGPRsForWavesPerEU: 16
; NumVGPRsForWavesPerEU: 137
; Occupancy: 10
; WaveLimiterHint : 1
; COMPUTE_PGM_RSRC2:SCRATCH_EN: 0
; COMPUTE_PGM_RSRC2:USER_SGPR: 2
; COMPUTE_PGM_RSRC2:TRAP_HANDLER: 0
; COMPUTE_PGM_RSRC2:TGID_X_EN: 1
; COMPUTE_PGM_RSRC2:TGID_Y_EN: 0
; COMPUTE_PGM_RSRC2:TGID_Z_EN: 0
; COMPUTE_PGM_RSRC2:TIDIG_COMP_CNT: 0
	.text
	.p2alignl 7, 3214868480
	.fill 96, 4, 3214868480
	.type	__hip_cuid_7db42419a93ba1c4,@object ; @__hip_cuid_7db42419a93ba1c4
	.section	.bss,"aw",@nobits
	.globl	__hip_cuid_7db42419a93ba1c4
__hip_cuid_7db42419a93ba1c4:
	.byte	0                               ; 0x0
	.size	__hip_cuid_7db42419a93ba1c4, 1

	.ident	"AMD clang version 19.0.0git (https://github.com/RadeonOpenCompute/llvm-project roc-6.4.0 25133 c7fe45cf4b819c5991fe208aaa96edf142730f1d)"
	.section	".note.GNU-stack","",@progbits
	.addrsig
	.addrsig_sym __hip_cuid_7db42419a93ba1c4
	.amdgpu_metadata
---
amdhsa.kernels:
  - .args:
      - .actual_access:  read_only
        .address_space:  global
        .offset:         0
        .size:           8
        .value_kind:     global_buffer
      - .actual_access:  read_only
        .address_space:  global
        .offset:         8
        .size:           8
        .value_kind:     global_buffer
      - .actual_access:  read_only
        .address_space:  global
        .offset:         16
        .size:           8
        .value_kind:     global_buffer
      - .actual_access:  read_only
        .address_space:  global
        .offset:         24
        .size:           8
        .value_kind:     global_buffer
      - .actual_access:  read_only
        .address_space:  global
        .offset:         32
        .size:           8
        .value_kind:     global_buffer
      - .offset:         40
        .size:           8
        .value_kind:     by_value
      - .address_space:  global
        .offset:         48
        .size:           8
        .value_kind:     global_buffer
      - .address_space:  global
        .offset:         56
        .size:           8
        .value_kind:     global_buffer
      - .address_space:  global
        .offset:         64
        .size:           8
        .value_kind:     global_buffer
      - .address_space:  global
        .offset:         72
        .size:           8
        .value_kind:     global_buffer
      - .offset:         80
        .size:           4
        .value_kind:     by_value
      - .address_space:  global
        .offset:         88
        .size:           8
        .value_kind:     global_buffer
      - .address_space:  global
        .offset:         96
        .size:           8
        .value_kind:     global_buffer
    .group_segment_fixed_size: 3960
    .kernarg_segment_align: 8
    .kernarg_segment_size: 104
    .language:       OpenCL C
    .language_version:
      - 2
      - 0
    .max_flat_workgroup_size: 55
    .name:           bluestein_single_fwd_len495_dim1_sp_op_CI_CI
    .private_segment_fixed_size: 0
    .sgpr_count:     16
    .sgpr_spill_count: 0
    .symbol:         bluestein_single_fwd_len495_dim1_sp_op_CI_CI.kd
    .uniform_work_group_size: 1
    .uses_dynamic_stack: false
    .vgpr_count:     137
    .vgpr_spill_count: 0
    .wavefront_size: 32
    .workgroup_processor_mode: 1
amdhsa.target:   amdgcn-amd-amdhsa--gfx1201
amdhsa.version:
  - 1
  - 2
...

	.end_amdgpu_metadata
